;; amdgpu-corpus repo=ROCm/rocFFT kind=compiled arch=gfx1201 opt=O3
	.text
	.amdgcn_target "amdgcn-amd-amdhsa--gfx1201"
	.amdhsa_code_object_version 6
	.protected	bluestein_single_fwd_len910_dim1_half_op_CI_CI ; -- Begin function bluestein_single_fwd_len910_dim1_half_op_CI_CI
	.globl	bluestein_single_fwd_len910_dim1_half_op_CI_CI
	.p2align	8
	.type	bluestein_single_fwd_len910_dim1_half_op_CI_CI,@function
bluestein_single_fwd_len910_dim1_half_op_CI_CI: ; @bluestein_single_fwd_len910_dim1_half_op_CI_CI
; %bb.0:
	s_load_b128 s[8:11], s[0:1], 0x28
	v_mul_u32_u24_e32 v1, 0x2d1, v0
	v_mov_b32_e32 v17, 0
	s_mov_b32 s2, exec_lo
	s_delay_alu instid0(VALU_DEP_2) | instskip(NEXT) | instid1(VALU_DEP_1)
	v_lshrrev_b32_e32 v1, 16, v1
	v_lshl_add_u32 v16, ttmp9, 1, v1
	s_wait_kmcnt 0x0
	s_delay_alu instid0(VALU_DEP_1)
	v_cmpx_gt_u64_e64 s[8:9], v[16:17]
	s_cbranch_execz .LBB0_23
; %bb.1:
	v_mul_lo_u16 v2, 0x5b, v1
	s_clause 0x1
	s_load_b64 s[20:21], s[0:1], 0x0
	s_load_b64 s[8:9], s[0:1], 0x38
	v_and_b32_e32 v1, 1, v1
	v_sub_nc_u16 v0, v0, v2
	s_delay_alu instid0(VALU_DEP_2) | instskip(NEXT) | instid1(VALU_DEP_2)
	v_cmp_eq_u32_e32 vcc_lo, 1, v1
	v_and_b32_e32 v38, 0xffff, v0
	v_cndmask_b32_e64 v27, 0, 0x38e, vcc_lo
	v_cmp_gt_u16_e32 vcc_lo, 0x46, v0
	s_delay_alu instid0(VALU_DEP_3) | instskip(NEXT) | instid1(VALU_DEP_3)
	v_lshlrev_b32_e32 v37, 2, v38
	v_lshlrev_b32_e32 v39, 2, v27
	s_and_saveexec_b32 s3, vcc_lo
	s_cbranch_execz .LBB0_3
; %bb.2:
	s_load_b64 s[4:5], s[0:1], 0x18
	s_wait_kmcnt 0x0
	s_load_b128 s[4:7], s[4:5], 0x0
	s_wait_kmcnt 0x0
	v_mad_co_u64_u32 v[0:1], null, s6, v16, 0
	v_mad_co_u64_u32 v[2:3], null, s4, v38, 0
	s_delay_alu instid0(VALU_DEP_1) | instskip(NEXT) | instid1(VALU_DEP_1)
	v_mad_co_u64_u32 v[4:5], null, s7, v16, v[1:2]
	v_mad_co_u64_u32 v[5:6], null, s5, v38, v[3:4]
	v_mov_b32_e32 v1, v4
	s_mul_u64 s[4:5], s[4:5], 0x118
	s_delay_alu instid0(VALU_DEP_1) | instskip(NEXT) | instid1(VALU_DEP_3)
	v_lshlrev_b64_e32 v[0:1], 2, v[0:1]
	v_mov_b32_e32 v3, v5
	s_clause 0x7
	global_load_b32 v4, v37, s[20:21]
	global_load_b32 v5, v37, s[20:21] offset:280
	global_load_b32 v6, v37, s[20:21] offset:560
	;; [unrolled: 1-line block ×7, first 2 shown]
	v_add_co_u32 v0, s2, s10, v0
	v_lshlrev_b64_e32 v[2:3], 2, v[2:3]
	v_add_co_ci_u32_e64 v1, s2, s11, v1, s2
	s_delay_alu instid0(VALU_DEP_2) | instskip(SKIP_1) | instid1(VALU_DEP_2)
	v_add_co_u32 v0, s2, v0, v2
	s_wait_alu 0xf1ff
	v_add_co_ci_u32_e64 v1, s2, v1, v3, s2
	global_load_b32 v12, v[0:1], off
	s_wait_alu 0xfffe
	v_add_co_u32 v0, s2, v0, s4
	s_wait_alu 0xf1ff
	v_add_co_ci_u32_e64 v1, s2, s5, v1, s2
	s_clause 0x4
	global_load_b32 v13, v37, s[20:21] offset:2240
	global_load_b32 v14, v37, s[20:21] offset:2520
	;; [unrolled: 1-line block ×5, first 2 shown]
	v_add_co_u32 v2, s2, v0, s4
	s_wait_alu 0xf1ff
	v_add_co_ci_u32_e64 v3, s2, s5, v1, s2
	global_load_b32 v19, v[0:1], off
	v_add_co_u32 v0, s2, v2, s4
	s_wait_alu 0xf1ff
	v_add_co_ci_u32_e64 v1, s2, s5, v3, s2
	s_clause 0x1
	global_load_b32 v20, v[2:3], off
	global_load_b32 v21, v[0:1], off
	v_add_co_u32 v0, s2, v0, s4
	s_wait_alu 0xf1ff
	v_add_co_ci_u32_e64 v1, s2, s5, v1, s2
	s_delay_alu instid0(VALU_DEP_2) | instskip(SKIP_1) | instid1(VALU_DEP_2)
	v_add_co_u32 v2, s2, v0, s4
	s_wait_alu 0xf1ff
	v_add_co_ci_u32_e64 v3, s2, s5, v1, s2
	global_load_b32 v22, v[0:1], off
	v_add_co_u32 v0, s2, v2, s4
	s_wait_alu 0xf1ff
	v_add_co_ci_u32_e64 v1, s2, s5, v3, s2
	global_load_b32 v23, v[2:3], off
	global_load_b32 v24, v[0:1], off
	v_add_co_u32 v0, s2, v0, s4
	s_wait_alu 0xf1ff
	v_add_co_ci_u32_e64 v1, s2, s5, v1, s2
	s_delay_alu instid0(VALU_DEP_2) | instskip(SKIP_1) | instid1(VALU_DEP_2)
	v_add_co_u32 v2, s2, v0, s4
	s_wait_alu 0xf1ff
	v_add_co_ci_u32_e64 v3, s2, s5, v1, s2
	global_load_b32 v25, v[0:1], off
	v_add_co_u32 v0, s2, v2, s4
	s_wait_alu 0xf1ff
	v_add_co_ci_u32_e64 v1, s2, s5, v3, s2
	global_load_b32 v26, v[2:3], off
	;; [unrolled: 4-line block ×5, first 2 shown]
	global_load_b32 v1, v[2:3], off
	v_lshl_add_u32 v3, v38, 2, v39
	v_add_nc_u32_e32 v2, v39, v37
	s_delay_alu instid0(VALU_DEP_1)
	v_add_nc_u32_e32 v30, 0x200, v2
	v_add_nc_u32_e32 v31, 0x400, v2
	;; [unrolled: 1-line block ×4, first 2 shown]
	s_wait_loadcnt 0x19
	v_lshrrev_b32_e32 v34, 16, v4
	s_wait_loadcnt 0x18
	v_lshrrev_b32_e32 v35, 16, v5
	;; [unrolled: 2-line block ×9, first 2 shown]
	v_mul_f16_e32 v49, v34, v12
	s_wait_loadcnt 0x10
	v_lshrrev_b32_e32 v45, 16, v13
	s_wait_loadcnt 0xf
	v_lshrrev_b32_e32 v47, 16, v14
	;; [unrolled: 2-line block ×3, first 2 shown]
	v_mul_f16_e32 v34, v34, v46
	v_fma_f16 v46, v4, v46, -v49
	s_wait_loadcnt 0xd
	v_lshrrev_b32_e32 v50, 16, v17
	s_wait_loadcnt 0xc
	v_lshrrev_b32_e32 v52, 16, v18
	;; [unrolled: 2-line block ×3, first 2 shown]
	v_mul_f16_e32 v49, v35, v19
	v_fmac_f16_e32 v34, v4, v12
	s_delay_alu instid0(VALU_DEP_3)
	v_mul_f16_e32 v4, v35, v51
	s_wait_loadcnt 0xa
	v_lshrrev_b32_e32 v12, 16, v20
	v_mul_f16_e32 v35, v36, v20
	v_fma_f16 v49, v5, v51, -v49
	v_pack_b32_f16 v34, v34, v46
	v_fmac_f16_e32 v4, v5, v19
	v_mul_f16_e32 v5, v36, v12
	s_wait_loadcnt 0x9
	v_lshrrev_b32_e32 v19, 16, v21
	v_fma_f16 v12, v6, v12, -v35
	v_mul_f16_e32 v35, v40, v21
	ds_store_b32 v3, v34
	v_pack_b32_f16 v3, v4, v49
	v_fmac_f16_e32 v5, v6, v20
	v_mul_f16_e32 v4, v40, v19
	s_wait_loadcnt 0x8
	v_lshrrev_b32_e32 v6, 16, v22
	v_mul_f16_e32 v20, v41, v22
	v_fma_f16 v19, v7, v19, -v35
	v_pack_b32_f16 v5, v5, v12
	v_fmac_f16_e32 v4, v7, v21
	v_mul_f16_e32 v7, v41, v6
	s_wait_loadcnt 0x7
	v_lshrrev_b32_e32 v12, 16, v23
	v_fma_f16 v6, v8, v6, -v20
	v_mul_f16_e32 v20, v42, v23
	ds_store_2addr_b32 v2, v3, v5 offset0:70 offset1:140
	v_pack_b32_f16 v3, v4, v19
	v_fmac_f16_e32 v7, v8, v22
	v_mul_f16_e32 v4, v42, v12
	s_wait_loadcnt 0x6
	v_lshrrev_b32_e32 v5, 16, v24
	v_fma_f16 v8, v9, v12, -v20
	v_mul_f16_e32 v12, v43, v24
	v_pack_b32_f16 v6, v7, v6
	v_fmac_f16_e32 v4, v9, v23
	v_mul_f16_e32 v7, v43, v5
	s_wait_loadcnt 0x5
	v_lshrrev_b32_e32 v9, 16, v25
	v_mul_f16_e32 v19, v44, v25
	v_fma_f16 v5, v10, v5, -v12
	v_pack_b32_f16 v4, v4, v8
	v_fmac_f16_e32 v7, v10, v24
	v_mul_f16_e32 v8, v44, v9
	s_wait_loadcnt 0x4
	v_lshrrev_b32_e32 v10, 16, v26
	v_fma_f16 v9, v11, v9, -v19
	v_mul_f16_e32 v12, v45, v26
	v_pack_b32_f16 v5, v7, v5
	v_fmac_f16_e32 v8, v11, v25
	s_wait_loadcnt 0x3
	v_lshrrev_b32_e32 v7, 16, v28
	v_mul_f16_e32 v11, v45, v10
	v_fma_f16 v10, v13, v10, -v12
	v_mul_f16_e32 v12, v47, v28
	v_pack_b32_f16 v8, v8, v9
	v_mul_f16_e32 v9, v47, v7
	v_fmac_f16_e32 v11, v13, v26
	s_wait_loadcnt 0x2
	v_lshrrev_b32_e32 v13, 16, v29
	v_fma_f16 v7, v14, v7, -v12
	v_mul_f16_e32 v12, v48, v29
	v_fmac_f16_e32 v9, v14, v28
	s_wait_loadcnt 0x1
	v_lshrrev_b32_e32 v14, 16, v0
	s_wait_loadcnt 0x0
	v_lshrrev_b32_e32 v20, 16, v1
	v_mul_f16_e32 v19, v48, v13
	v_fma_f16 v12, v15, v13, -v12
	v_mul_f16_e32 v13, v50, v0
	v_mul_f16_e32 v21, v50, v14
	;; [unrolled: 1-line block ×4, first 2 shown]
	v_fmac_f16_e32 v19, v15, v29
	v_fma_f16 v13, v17, v14, -v13
	v_fmac_f16_e32 v21, v17, v0
	v_fma_f16 v0, v18, v20, -v22
	v_fmac_f16_e32 v23, v18, v1
	v_pack_b32_f16 v1, v11, v10
	v_pack_b32_f16 v7, v9, v7
	;; [unrolled: 1-line block ×5, first 2 shown]
	v_add_nc_u32_e32 v2, 0xc00, v2
	ds_store_2addr_b32 v30, v3, v6 offset0:82 offset1:152
	ds_store_2addr_b32 v31, v4, v5 offset0:94 offset1:164
	;; [unrolled: 1-line block ×5, first 2 shown]
.LBB0_3:
	s_or_b32 exec_lo, exec_lo, s3
	s_clause 0x1
	s_load_b64 s[4:5], s[0:1], 0x20
	s_load_b64 s[2:3], s[0:1], 0x8
	v_mov_b32_e32 v4, 0
                                        ; kill: def $vgpr0 killed $sgpr0 killed $exec
	global_wb scope:SCOPE_SE
	s_wait_dscnt 0x0
	s_wait_kmcnt 0x0
	s_barrier_signal -1
	s_barrier_wait -1
	global_inv scope:SCOPE_SE
                                        ; implicit-def: $vgpr10
                                        ; implicit-def: $vgpr1
                                        ; implicit-def: $vgpr3
                                        ; implicit-def: $vgpr7
                                        ; implicit-def: $vgpr13
                                        ; implicit-def: $vgpr15
	s_and_saveexec_b32 s0, vcc_lo
	s_cbranch_execz .LBB0_5
; %bb.4:
	v_lshl_add_u32 v8, v27, 2, v37
	s_delay_alu instid0(VALU_DEP_1)
	v_add_nc_u32_e32 v0, 0x400, v8
	v_add_nc_u32_e32 v1, 0x800, v8
	;; [unrolled: 1-line block ×3, first 2 shown]
	ds_load_2addr_b32 v[4:5], v8 offset1:70
	ds_load_2addr_b32 v[14:15], v8 offset0:140 offset1:210
	ds_load_2addr_b32 v[12:13], v0 offset0:24 offset1:94
	ds_load_2addr_b32 v[6:7], v0 offset0:164 offset1:234
	ds_load_2addr_b32 v[2:3], v1 offset0:48 offset1:118
	ds_load_2addr_b32 v[0:1], v9 offset0:60 offset1:130
	ds_load_b32 v10, v8 offset:3360
.LBB0_5:
	s_wait_alu 0xfffe
	s_or_b32 exec_lo, exec_lo, s0
	s_wait_dscnt 0x0
	v_pk_add_f16 v17, v5, v10 neg_lo:[0,1] neg_hi:[0,1]
	v_pk_add_f16 v19, v10, v5
	v_pk_add_f16 v18, v14, v1 neg_lo:[0,1] neg_hi:[0,1]
	v_pk_add_f16 v20, v1, v14
	v_pk_add_f16 v21, v15, v0 neg_lo:[0,1] neg_hi:[0,1]
	v_lshrrev_b32_e32 v81, 16, v17
	v_pk_mul_f16 v8, 0x3b15388b, v19
	v_lshrrev_b32_e32 v79, 16, v18
	v_lshrrev_b32_e32 v55, 16, v19
	v_mul_f16_e32 v60, 0xbbf1, v17
	v_mul_f16_e32 v33, 0xb770, v81
	v_pk_fma_f16 v24, 0xba95b770, v17, v8 op_sel:[0,0,1] op_sel_hi:[1,1,0] neg_lo:[0,1,0] neg_hi:[0,1,0]
	v_pk_fma_f16 v25, 0xba95b770, v17, v8 op_sel:[0,0,1] op_sel_hi:[1,1,0]
	v_mul_f16_e32 v32, 0xba95, v79
	v_lshrrev_b32_e32 v36, 16, v4
	v_fmamk_f16 v8, v19, 0x3b15, v33
	v_mul_f16_e32 v44, 0xba95, v17
	v_mul_f16_e32 v49, 0xbbf1, v81
	v_fmamk_f16 v23, v20, 0x388b, v32
	v_fma_f16 v22, v55, 0x2fb7, -v60
	v_add_f16_e32 v8, v8, v4
	v_lshrrev_b32_e32 v82, 16, v21
	v_fma_f16 v9, v55, 0x388b, -v44
	v_fmamk_f16 v11, v19, 0x2fb7, v49
	v_add_f16_e32 v26, v22, v36
	v_add_f16_e32 v8, v23, v8
	v_pk_mul_f16 v23, 0x388bb5ac, v20
	v_lshrrev_b32_e32 v63, 16, v20
	v_mul_f16_e32 v52, 0xbb7b, v18
	v_mul_f16_e32 v59, 0xb3a8, v79
	v_mul_f16_e32 v66, 0xb3a8, v18
	v_pk_add_f16 v22, v0, v15
	v_mul_f16_e32 v42, 0xbbf1, v82
	v_pk_fma_f16 v40, 0xbb7bba95, v18, v23 op_sel:[0,0,1] op_sel_hi:[1,1,0] neg_lo:[0,1,0] neg_hi:[0,1,0]
	v_pk_fma_f16 v41, 0xbb7bba95, v18, v23 op_sel:[0,0,1] op_sel_hi:[1,1,0]
	v_pk_add_f16 v23, v12, v3 neg_lo:[0,1] neg_hi:[0,1]
	v_add_f16_e32 v9, v9, v36
	v_add_f16_e32 v11, v11, v4
	v_fma_f16 v28, v63, 0xb5ac, -v52
	v_fmamk_f16 v29, v20, 0xbbc4, v59
	v_fma_f16 v30, v63, 0xbbc4, -v66
	v_fmamk_f16 v31, v22, 0x2fb7, v42
	v_mul_f16_e32 v62, 0x3b7b, v82
	v_lshrrev_b32_e32 v83, 16, v23
	v_add_f16_e32 v9, v28, v9
	v_add_f16_e32 v11, v29, v11
	v_add_f16_e32 v28, v30, v26
	v_add_f16_e32 v8, v31, v8
	v_pk_mul_f16 v29, 0x2fb7bbc4, v22
	v_lshrrev_b32_e32 v70, 16, v22
	v_mul_f16_e32 v58, 0xb3a8, v21
	v_mul_f16_e32 v72, 0x3b7b, v21
	v_fmamk_f16 v31, v22, 0xb5ac, v62
	v_pk_add_f16 v26, v3, v12
	v_mul_f16_e32 v47, 0xbb7b, v83
	v_pk_fma_f16 v45, 0xb3a8bbf1, v21, v29 op_sel:[0,0,1] op_sel_hi:[1,1,0] neg_lo:[0,1,0] neg_hi:[0,1,0]
	v_fma_f16 v30, v70, 0xbbc4, -v58
	v_fma_f16 v34, v70, 0xb5ac, -v72
	v_pk_fma_f16 v46, 0xb3a8bbf1, v21, v29 op_sel:[0,0,1] op_sel_hi:[1,1,0]
	v_add_f16_e32 v11, v31, v11
	v_fmamk_f16 v29, v26, 0xb5ac, v47
	v_lshrrev_b32_e32 v71, 16, v26
	v_mul_f16_e32 v53, 0x394e, v23
	v_pk_add_f16 v31, v13, v2 neg_lo:[0,1] neg_hi:[0,1]
	v_add_f16_e32 v9, v30, v9
	v_add_f16_e32 v28, v34, v28
	v_pk_mul_f16 v30, 0xb5acb9fd, v26
	v_add_f16_e32 v8, v29, v8
	v_fma_f16 v29, v71, 0xb9fd, -v53
	v_mul_f16_e32 v67, 0x3770, v83
	v_lshrrev_b32_e32 v84, 16, v31
	v_mul_f16_e32 v76, 0x3770, v23
	v_pk_add_f16 v34, v2, v13
	v_pk_fma_f16 v50, 0x394ebb7b, v23, v30 op_sel:[0,0,1] op_sel_hi:[1,1,0] neg_lo:[0,1,0] neg_hi:[0,1,0]
	v_pk_fma_f16 v51, 0x394ebb7b, v23, v30 op_sel:[0,0,1] op_sel_hi:[1,1,0]
	v_add_f16_e32 v9, v29, v9
	v_fmamk_f16 v29, v26, 0x3b15, v67
	v_mul_f16_e32 v54, 0xb94e, v84
	v_fma_f16 v30, v71, 0x3b15, -v76
	v_lshrrev_b32_e32 v75, 16, v34
	v_mul_f16_e32 v61, 0x3bf1, v31
	v_add_f16_e32 v11, v29, v11
	v_fmamk_f16 v29, v34, 0xb9fd, v54
	v_pk_mul_f16 v35, 0xb9fd2fb7, v34
	v_add_f16_e32 v28, v30, v28
	v_fma_f16 v30, v75, 0x2fb7, -v61
	v_mul_f16_e32 v64, 0xba95, v84
	v_add_f16_e32 v8, v29, v8
	v_pk_fma_f16 v56, 0x3bf1b94e, v31, v35 op_sel:[0,0,1] op_sel_hi:[1,1,0] neg_lo:[0,1,0] neg_hi:[0,1,0]
	v_pk_fma_f16 v57, 0x3bf1b94e, v31, v35 op_sel:[0,0,1] op_sel_hi:[1,1,0]
	v_add_f16_e32 v29, v30, v9
	v_fmamk_f16 v9, v34, 0x388b, v64
	v_pk_add_f16 v43, v6, v7 neg_lo:[0,1] neg_hi:[0,1]
	v_add_f16_e32 v30, v24, v36
	v_lshrrev_b32_e32 v35, 16, v25
	v_mul_f16_e32 v78, 0xba95, v31
	v_add_f16_e32 v11, v9, v11
	v_lshrrev_b32_e32 v85, 16, v43
	v_add_f16_e32 v9, v40, v30
	v_add_f16_e32 v30, v35, v4
	v_lshrrev_b32_e32 v35, 16, v41
	v_fma_f16 v68, v75, 0x388b, -v78
	v_pk_add_f16 v48, v7, v6
	v_mul_f16_e32 v65, 0xb3a8, v85
	v_add_f16_e32 v9, v45, v9
	v_add_f16_e32 v30, v35, v30
	v_lshrrev_b32_e32 v35, 16, v46
	v_add_f16_e32 v86, v68, v28
	v_fmamk_f16 v28, v48, 0xbbc4, v65
	v_pk_mul_f16 v69, 0xbbc43b15, v48
	v_add_f16_e32 v73, v50, v9
	v_add_f16_e32 v30, v35, v30
	v_lshrrev_b32_e32 v35, 16, v51
	v_add_f16_e32 v9, v28, v8
	v_pk_fma_f16 v68, 0x3770b3a8, v43, v69 op_sel:[0,0,1] op_sel_hi:[1,1,0] neg_lo:[0,1,0] neg_hi:[0,1,0]
	v_add_f16_e32 v8, v56, v73
	v_lshrrev_b32_e32 v80, 16, v48
	v_add_f16_e32 v28, v35, v30
	v_lshrrev_b32_e32 v30, 16, v57
	v_pk_fma_f16 v69, 0x3770b3a8, v43, v69 op_sel:[0,0,1] op_sel_hi:[1,1,0]
	v_mul_f16_e32 v73, 0x3770, v43
	v_mul_f16_e32 v74, 0xb94e, v85
	;; [unrolled: 1-line block ×3, first 2 shown]
	v_add_f16_e32 v30, v30, v28
	v_lshrrev_b32_e32 v35, 16, v69
	v_fma_f16 v87, v80, 0x3b15, -v73
	v_fmamk_f16 v88, v48, 0xb9fd, v74
	v_fma_f16 v89, v80, 0xb9fd, -v77
	v_add_f16_e32 v28, v68, v8
	v_add_f16_e32 v8, v35, v30
	;; [unrolled: 1-line block ×5, first 2 shown]
	v_mul_lo_u16 v35, v38, 13
	global_wb scope:SCOPE_SE
	s_barrier_signal -1
	s_barrier_wait -1
	global_inv scope:SCOPE_SE
	s_and_saveexec_b32 s0, vcc_lo
	s_cbranch_execz .LBB0_7
; %bb.6:
	v_mul_f16_e32 v86, 0xb5ac, v55
	v_mul_f16_e32 v87, 0xbb7b, v81
	;; [unrolled: 1-line block ×5, first 2 shown]
	v_fmamk_f16 v91, v17, 0x3b7b, v86
	v_fmamk_f16 v93, v19, 0xb5ac, v87
	v_mul_f16_e32 v92, 0x3770, v82
	v_fmamk_f16 v95, v18, 0xb94e, v88
	v_fmamk_f16 v96, v20, 0xb9fd, v89
	v_add_f16_e32 v91, v91, v36
	v_add_f16_e32 v93, v93, v4
	v_mul_f16_e32 v94, 0x2fb7, v71
	v_mul_f16_e32 v97, 0xbbf1, v83
	v_fmamk_f16 v98, v21, 0xb770, v90
	v_add_f16_e32 v91, v95, v91
	v_fmamk_f16 v95, v22, 0x3b15, v92
	v_add_f16_e32 v93, v96, v93
	v_mul_f16_e32 v96, 0xbbc4, v75
	v_fmamk_f16 v99, v23, 0x3bf1, v94
	v_add_f16_e32 v91, v98, v91
	v_fmamk_f16 v98, v26, 0x2fb7, v97
	v_add_f16_e32 v93, v95, v93
	v_mul_f16_e32 v95, 0x33a8, v84
	v_mul_f16_e32 v100, 0x388b, v80
	v_add_f16_e32 v91, v99, v91
	v_fmamk_f16 v99, v31, 0xb3a8, v96
	v_add_f16_e32 v93, v98, v93
	v_mul_f16_e32 v98, 0xb9fd, v55
	v_fmamk_f16 v101, v34, 0xbbc4, v95
	v_fmamk_f16 v102, v43, 0xba95, v100
	v_add_f16_e32 v91, v99, v91
	v_mul_f16_e32 v103, 0x2fb7, v63
	v_fmamk_f16 v99, v17, 0x394e, v98
	v_mul_f16_e32 v81, 0xb94e, v81
	v_add_f16_e32 v93, v101, v93
	v_add_f16_e32 v91, v102, v91
	v_fmamk_f16 v101, v18, 0xbbf1, v103
	v_add_f16_e32 v99, v99, v36
	v_mul_f16_e32 v102, 0x388b, v70
	v_fmamk_f16 v105, v19, 0xb9fd, v81
	v_mul_f16_e32 v79, 0x3bf1, v79
	v_fma_f16 v81, v19, 0xb9fd, -v81
	v_fmac_f16_e32 v86, 0xbb7b, v17
	v_add_f16_e32 v99, v101, v99
	v_fmamk_f16 v101, v21, 0x3a95, v102
	v_mul_f16_e32 v106, 0xbbc4, v71
	v_add_f16_e32 v105, v105, v4
	v_fmamk_f16 v107, v20, 0x2fb7, v79
	v_mul_f16_e32 v82, 0xba95, v82
	v_fmac_f16_e32 v98, 0xb94e, v17
	v_add_f16_e32 v81, v81, v4
	v_fma_f16 v79, v20, 0x2fb7, -v79
	v_add_f16_e32 v86, v86, v36
	v_fmac_f16_e32 v88, 0x394e, v18
	v_add_f16_e32 v99, v101, v99
	v_fmamk_f16 v101, v23, 0xb3a8, v106
	v_mul_f16_e32 v108, 0x3b15, v75
	v_add_f16_e32 v105, v107, v105
	v_fmamk_f16 v107, v22, 0x388b, v82
	v_mul_f16_e32 v83, 0x33a8, v83
	v_add_f16_e32 v98, v98, v36
	v_fmac_f16_e32 v103, 0x3bf1, v18
	v_add_f16_e32 v79, v79, v81
	v_fma_f16 v81, v22, 0x388b, -v82
	v_add_f16_e32 v82, v88, v86
	v_fmac_f16_e32 v90, 0x3770, v21
	v_add_f16_e32 v99, v101, v99
	v_fmamk_f16 v101, v31, 0xb770, v108
	v_mul_f16_e32 v109, 0xb5ac, v80
	v_add_f16_e32 v105, v107, v105
	v_fmamk_f16 v107, v26, 0xbbc4, v83
	v_mul_f16_e32 v84, 0x3770, v84
	v_add_f16_e32 v98, v103, v98
	v_fmac_f16_e32 v102, 0xba95, v21
	v_add_f16_e32 v79, v81, v79
	v_fma_f16 v81, v26, 0xbbc4, -v83
	v_add_f16_e32 v82, v90, v82
	v_fmac_f16_e32 v94, 0xbbf1, v23
	v_mul_f16_e32 v104, 0x3a95, v85
	v_add_f16_e32 v99, v101, v99
	v_fmamk_f16 v101, v43, 0x3b7b, v109
	v_add_f16_e32 v105, v107, v105
	v_fmamk_f16 v107, v34, 0x3b15, v84
	v_mul_f16_e32 v85, 0xbb7b, v85
	v_add_f16_e32 v86, v102, v98
	v_fmac_f16_e32 v106, 0x33a8, v23
	v_add_f16_e32 v79, v81, v79
	v_fma_f16 v81, v34, 0x3b15, -v84
	v_add_f16_e32 v82, v94, v82
	v_fmac_f16_e32 v96, 0x33a8, v31
	v_add_f16_e32 v99, v101, v99
	v_add_f16_e32 v101, v107, v105
	v_fmamk_f16 v105, v48, 0xb5ac, v85
	v_add_f16_e32 v83, v106, v86
	v_add_f16_e32 v79, v81, v79
	v_add_f16_e32 v81, v96, v82
	v_fma_f16 v82, v48, 0xb5ac, -v85
	v_fma_f16 v85, v19, 0xb5ac, -v87
	v_mul_f16_e32 v86, 0x2fb7, v55
	v_alignbit_b32 v87, v4, v4, 16
	v_mul_f16_e32 v55, 0x388b, v55
	v_add_f16_e32 v79, v82, v79
	v_mul_f16_e32 v82, 0xbbc4, v63
	v_add_f16_e32 v60, v60, v86
	v_pk_add_f16 v5, v5, v87 op_sel:[0,1] op_sel_hi:[1,0]
	v_add_f16_e32 v85, v85, v4
	v_fma_f16 v86, v20, 0xb9fd, -v89
	v_add_f16_e32 v66, v66, v82
	v_add_f16_e32 v60, v60, v36
	v_pk_add_f16 v5, v14, v5
	v_mul_f16_e32 v82, 0x3b15, v19
	v_add_f16_e32 v85, v86, v85
	v_mul_f16_e32 v86, 0xb5ac, v70
	v_fma_f16 v88, v22, 0x3b15, -v92
	v_add_f16_e32 v60, v66, v60
	v_mul_f16_e32 v66, 0x2fb7, v19
	v_mul_f16_e32 v63, 0xb5ac, v63
	v_add_f16_e32 v44, v44, v55
	v_pk_add_f16 v5, v15, v5
	v_add_f16_e32 v72, v72, v86
	v_mul_f16_e32 v86, 0x388b, v20
	v_add_f16_e32 v85, v88, v85
	v_mul_f16_e32 v88, 0x3b15, v71
	v_fma_f16 v89, v26, 0x2fb7, -v97
	v_mul_f16_e32 v70, 0xbbc4, v70
	v_sub_f16_e32 v49, v66, v49
	v_add_f16_e32 v36, v44, v36
	v_add_f16_e32 v44, v52, v63
	v_sub_f16_e32 v33, v82, v33
	v_pk_add_f16 v5, v12, v5
	v_add_f16_e32 v60, v72, v60
	v_mul_f16_e32 v72, 0xbbc4, v20
	v_add_f16_e32 v76, v76, v88
	v_mul_f16_e32 v88, 0x388b, v75
	;; [unrolled: 2-line block ×3, first 2 shown]
	v_mul_f16_e32 v71, 0xb9fd, v71
	v_add_f16_e32 v49, v49, v4
	v_add_f16_e32 v36, v44, v36
	;; [unrolled: 1-line block ×4, first 2 shown]
	v_sub_f16_e32 v32, v86, v32
	v_pk_add_f16 v5, v13, v5
	v_add_f16_e32 v78, v78, v88
	v_mul_f16_e32 v88, 0xb5ac, v26
	v_sub_f16_e32 v59, v72, v59
	v_mul_f16_e32 v75, 0x2fb7, v75
	v_add_f16_e32 v36, v44, v36
	v_add_f16_e32 v14, v53, v71
	;; [unrolled: 1-line block ×3, first 2 shown]
	v_sub_f16_e32 v12, v89, v42
	v_pk_add_f16 v5, v6, v5
	v_add_f16_e32 v60, v76, v60
	v_mul_f16_e32 v72, 0xb9fd, v34
	v_add_f16_e32 v49, v59, v49
	v_mul_f16_e32 v59, 0x3b15, v80
	v_add_f16_e32 v14, v14, v36
	v_add_f16_e32 v15, v61, v75
	;; [unrolled: 1-line block ×3, first 2 shown]
	v_sub_f16_e32 v12, v88, v47
	v_pk_add_f16 v5, v7, v5
	v_add_f16_e32 v60, v78, v60
	v_mul_f16_e32 v78, 0xbbc4, v48
	v_add_f16_e32 v14, v15, v14
	v_add_f16_e32 v15, v73, v59
	;; [unrolled: 1-line block ×3, first 2 shown]
	v_sub_f16_e32 v12, v72, v54
	v_pk_add_f16 v2, v2, v5
	v_and_b32_e32 v5, 0xffff, v35
	v_add_f16_e32 v13, v15, v14
	v_bfi_b32 v14, 0xffff, v25, v24
	v_add_f16_e32 v4, v12, v4
	v_sub_f16_e32 v12, v78, v65
	v_pk_mul_f16 v19, 0xbbc4, v19 op_sel_hi:[0,1]
	v_pk_add_f16 v2, v3, v2
	v_bfi_b32 v6, 0xffff, v41, v40
	v_add_lshl_u32 v3, v27, v5, 2
	v_add_f16_e32 v4, v12, v4
	v_pk_add_f16 v5, v14, v87
	v_pk_fma_f16 v12, 0xb3a8, v17, v19 op_sel:[0,0,1] op_sel_hi:[0,1,0] neg_lo:[0,1,0] neg_hi:[0,1,0]
	v_pk_mul_f16 v14, 0x3b15, v20 op_sel_hi:[0,1]
	v_pk_add_f16 v0, v0, v2
	v_pk_fma_f16 v2, 0xb3a8, v17, v19 op_sel:[0,0,1] op_sel_hi:[0,1,0]
	v_mul_f16_e32 v76, 0xb5ac, v22
	v_bfi_b32 v15, 0xffff, v46, v45
	v_pk_add_f16 v5, v6, v5
	v_pk_add_f16 v6, v12, v87
	v_pk_fma_f16 v12, 0x3770, v18, v14 op_sel:[0,0,1] op_sel_hi:[0,1,0] neg_lo:[0,1,0] neg_hi:[0,1,0]
	v_pk_mul_f16 v17, 0xb9fd, v22 op_sel_hi:[0,1]
	v_pk_add_f16 v2, v2, v87
	v_pk_fma_f16 v14, 0x3770, v18, v14 op_sel:[0,0,1] op_sel_hi:[0,1,0]
	v_mul_f16_e32 v66, 0x3b15, v26
	v_fma_f16 v90, v34, 0xbbc4, -v95
	v_sub_f16_e32 v62, v76, v62
	v_bfi_b32 v7, 0xffff, v51, v50
	v_pk_add_f16 v5, v15, v5
	v_pk_add_f16 v6, v12, v6
	v_pk_fma_f16 v12, 0xb94e, v21, v17 op_sel:[0,0,1] op_sel_hi:[0,1,0] neg_lo:[0,1,0] neg_hi:[0,1,0]
	v_pk_mul_f16 v15, 0x388b, v26 op_sel_hi:[0,1]
	v_pk_add_f16 v2, v14, v2
	v_pk_fma_f16 v14, 0xb94e, v21, v17 op_sel:[0,0,1] op_sel_hi:[0,1,0]
	v_add_f16_e32 v85, v90, v85
	v_mul_f16_e32 v90, 0x388b, v34
	v_add_f16_e32 v49, v62, v49
	v_sub_f16_e32 v62, v66, v67
	v_fmac_f16_e32 v108, 0x3770, v31
	v_bfi_b32 v24, 0xffff, v57, v56
	v_pk_add_f16 v5, v7, v5
	v_pk_add_f16 v6, v12, v6
	v_pk_fma_f16 v7, 0x3a95, v23, v15 op_sel:[0,0,1] op_sel_hi:[0,1,0] neg_lo:[0,1,0] neg_hi:[0,1,0]
	v_pk_mul_f16 v12, 0xb5ac, v34 op_sel_hi:[0,1]
	v_pk_add_f16 v2, v14, v2
	v_pk_fma_f16 v14, 0x3a95, v23, v15 op_sel:[0,0,1] op_sel_hi:[0,1,0]
	v_mul_f16_e32 v80, 0xb9fd, v80
	v_mul_f16_e32 v55, 0xb9fd, v48
	v_add_f16_e32 v49, v62, v49
	v_sub_f16_e32 v58, v90, v64
	v_add_f16_e32 v83, v108, v83
	v_fmac_f16_e32 v109, 0xbb7b, v43
	v_bfi_b32 v25, 0xffff, v69, v68
	v_pk_add_f16 v5, v24, v5
	v_pk_add_f16 v6, v7, v6
	v_pk_fma_f16 v7, 0xbb7b, v31, v12 op_sel:[0,0,1] op_sel_hi:[0,1,0] neg_lo:[0,1,0] neg_hi:[0,1,0]
	v_pk_mul_f16 v15, 0x2fb7, v48 op_sel_hi:[0,1]
	v_pk_add_f16 v2, v14, v2
	v_pk_fma_f16 v12, 0xbb7b, v31, v12 op_sel:[0,0,1] op_sel_hi:[0,1,0]
	v_fmac_f16_e32 v100, 0x3a95, v43
	v_fma_f16 v92, v48, 0x388b, -v104
	v_add_f16_e32 v76, v77, v80
	v_add_f16_e32 v44, v58, v49
	v_sub_f16_e32 v33, v55, v74
	v_add_f16_e32 v83, v109, v83
	v_pk_add_f16 v0, v1, v0
	v_pk_add_f16 v1, v25, v5
	;; [unrolled: 1-line block ×3, first 2 shown]
	v_pk_fma_f16 v6, 0x3bf1, v43, v15 op_sel:[0,0,1] op_sel_hi:[0,1,0] neg_lo:[0,1,0] neg_hi:[0,1,0]
	v_pk_add_f16 v2, v12, v2
	v_pk_fma_f16 v7, 0x3bf1, v43, v15 op_sel:[0,0,1] op_sel_hi:[0,1,0]
	v_fmamk_f16 v110, v48, 0x388b, v104
	v_add_f16_e32 v81, v100, v81
	v_add_f16_e32 v52, v92, v85
	;; [unrolled: 1-line block ×4, first 2 shown]
	v_pk_add_f16 v0, v10, v0
	v_pack_b32_f16 v12, v79, v83
	v_pk_add_f16 v5, v6, v5
	v_pk_add_f16 v2, v7, v2
	v_add_f16_e32 v93, v110, v93
	v_add_f16_e32 v84, v105, v101
	v_alignbit_b32 v10, v13, v1, 16
	v_pack_b32_f16 v1, v4, v1
	v_pack_b32_f16 v4, v32, v60
	;; [unrolled: 1-line block ×3, first 2 shown]
	ds_store_2addr_b32 v3, v0, v12 offset1:5
	v_alignbit_b32 v0, v5, v2, 16
	v_alignbit_b32 v2, v2, v5, 16
	v_pack_b32_f16 v5, v93, v91
	v_pack_b32_f16 v7, v84, v99
	v_perm_b32 v12, v29, v8, 0x5040100
	v_perm_b32 v13, v30, v11, 0x5040100
	;; [unrolled: 1-line block ×3, first 2 shown]
	ds_store_2addr_b32 v3, v1, v10 offset0:1 offset1:2
	ds_store_2addr_b32 v3, v4, v6 offset0:3 offset1:4
	;; [unrolled: 1-line block ×5, first 2 shown]
	ds_store_b32 v3, v14 offset:48
.LBB0_7:
	s_wait_alu 0xfffe
	s_or_b32 exec_lo, exec_lo, s0
	v_and_b32_e32 v0, 0xff, v38
	v_add_co_u32 v12, s0, 0x5b, v38
	v_add_co_u32 v2, null, 0xb6, v38
	v_add_co_u32 v3, null, 0x111, v38
	s_delay_alu instid0(VALU_DEP_4)
	v_mul_lo_u16 v0, 0x4f, v0
	v_add_co_u32 v4, null, 0x16c, v38
	v_and_b32_e32 v1, 0xff, v12
	v_and_b32_e32 v5, 0xffff, v2
	;; [unrolled: 1-line block ×3, first 2 shown]
	v_lshrrev_b16 v10, 10, v0
	v_and_b32_e32 v7, 0xffff, v4
	v_mul_lo_u16 v1, 0x4f, v1
	v_mul_u32_u24_e32 v5, 0x4ec5, v5
	v_mul_u32_u24_e32 v6, 0x4ec5, v6
	v_mul_lo_u16 v14, v10, 13
	v_mul_u32_u24_e32 v7, 0x4ec5, v7
	v_lshrrev_b16 v21, 10, v1
	v_lshrrev_b32_e32 v22, 18, v5
	v_lshrrev_b32_e32 v23, 18, v6
	v_sub_nc_u16 v5, v38, v14
	v_lshrrev_b32_e32 v24, 18, v7
	v_mul_lo_u16 v6, v21, 13
	v_mul_lo_u16 v7, v22, 13
	;; [unrolled: 1-line block ×3, first 2 shown]
	v_and_b32_e32 v25, 0xff, v5
	v_mul_lo_u16 v15, v24, 13
	v_sub_nc_u16 v5, v12, v6
	v_sub_nc_u16 v26, v2, v7
	;; [unrolled: 1-line block ×3, first 2 shown]
	v_lshlrev_b32_e32 v2, 2, v25
	v_sub_nc_u16 v32, v4, v15
	v_and_b32_e32 v33, 0xff, v5
	v_and_b32_e32 v3, 0xffff, v26
	s_load_b128 s[4:7], s[4:5], 0x0
	global_wb scope:SCOPE_SE
	s_wait_dscnt 0x0
	s_wait_kmcnt 0x0
	s_barrier_signal -1
	s_barrier_wait -1
	global_inv scope:SCOPE_SE
	v_and_b32_e32 v4, 0xffff, v31
	global_load_b32 v46, v2, s[2:3]
	v_and_b32_e32 v5, 0xffff, v32
	v_lshlrev_b32_e32 v2, 2, v33
	v_lshlrev_b32_e32 v3, 2, v3
	;; [unrolled: 1-line block ×3, first 2 shown]
	v_add_lshl_u32 v41, v27, v38, 2
	v_lshlrev_b32_e32 v5, 2, v5
	s_clause 0x3
	global_load_b32 v48, v2, s[2:3]
	global_load_b32 v47, v3, s[2:3]
	;; [unrolled: 1-line block ×4, first 2 shown]
	v_and_b32_e32 v10, 0xffff, v10
	v_add_nc_u32_e32 v3, 0x400, v41
	v_add_nc_u32_e32 v2, 0x800, v41
	;; [unrolled: 1-line block ×4, first 2 shown]
	ds_load_2addr_b32 v[4:5], v41 offset1:91
	ds_load_2addr_b32 v[6:7], v3 offset0:108 offset1:199
	ds_load_2addr_b32 v[14:15], v2 offset0:34 offset1:125
	;; [unrolled: 1-line block ×4, first 2 shown]
	v_and_b32_e32 v21, 0xffff, v21
	v_mul_u32_u24_e32 v10, 26, v10
	v_mad_u16 v22, v22, 26, v26
	v_mad_u16 v23, v23, 26, v31
	;; [unrolled: 1-line block ×3, first 2 shown]
	v_mul_u32_u24_e32 v21, 26, v21
	v_add_nc_u32_e32 v10, v10, v25
	global_wb scope:SCOPE_SE
	s_wait_loadcnt_dscnt 0x0
	s_barrier_signal -1
	s_barrier_wait -1
	global_inv scope:SCOPE_SE
	v_add_lshl_u32 v49, v27, v10, 2
	v_add_nc_u32_e32 v10, v21, v33
	v_and_b32_e32 v21, 0xffff, v22
	v_and_b32_e32 v22, 0xffff, v23
	;; [unrolled: 1-line block ×3, first 2 shown]
	v_lshrrev_b32_e32 v40, 16, v7
	v_lshrrev_b32_e32 v42, 16, v14
	v_add_lshl_u32 v50, v27, v10, 2
	v_lshrrev_b32_e32 v59, 16, v15
	v_lshrrev_b32_e32 v61, 16, v19
	;; [unrolled: 1-line block ×3, first 2 shown]
	v_add_lshl_u32 v51, v27, v21, 2
	v_add_lshl_u32 v52, v27, v22, 2
	;; [unrolled: 1-line block ×3, first 2 shown]
	v_lshrrev_b32_e32 v34, 16, v4
	v_lshrrev_b32_e32 v36, 16, v5
	;; [unrolled: 1-line block ×5, first 2 shown]
	v_add_co_ci_u32_e64 v13, null, 0, 0, s0
	v_cmp_gt_u16_e64 s0, 39, v38
	v_lshrrev_b32_e32 v55, 16, v46
	s_delay_alu instid0(VALU_DEP_1)
	v_mul_f16_e32 v10, v40, v55
	v_lshrrev_b32_e32 v57, 16, v48
	v_lshrrev_b32_e32 v58, 16, v47
	;; [unrolled: 1-line block ×4, first 2 shown]
	v_mul_f16_e32 v21, v7, v55
	v_fma_f16 v7, v7, v46, -v10
	v_mul_f16_e32 v10, v42, v57
	v_mul_f16_e32 v22, v14, v57
	;; [unrolled: 1-line block ×8, first 2 shown]
	v_fmac_f16_e32 v21, v40, v46
	v_fma_f16 v10, v14, v48, -v10
	v_fmac_f16_e32 v22, v42, v48
	v_fma_f16 v14, v15, v47, -v23
	;; [unrolled: 2-line block ×4, first 2 shown]
	v_fmac_f16_e32 v33, v25, v44
	v_sub_f16_e32 v7, v4, v7
	v_sub_f16_e32 v19, v34, v21
	;; [unrolled: 1-line block ×10, first 2 shown]
	v_fma_f16 v4, v4, 2.0, -v7
	v_fma_f16 v21, v34, 2.0, -v19
	v_pack_b32_f16 v7, v7, v19
	v_fma_f16 v5, v5, 2.0, -v23
	v_fma_f16 v19, v36, 2.0, -v22
	;; [unrolled: 1-line block ×8, first 2 shown]
	v_pack_b32_f16 v4, v4, v21
	v_pack_b32_f16 v6, v23, v22
	;; [unrolled: 1-line block ×9, first 2 shown]
	ds_store_2addr_b32 v49, v4, v7 offset1:13
	ds_store_2addr_b32 v50, v5, v6 offset1:13
	;; [unrolled: 1-line block ×5, first 2 shown]
	global_wb scope:SCOPE_SE
	s_wait_dscnt 0x0
	s_barrier_signal -1
	s_barrier_wait -1
	global_inv scope:SCOPE_SE
	ds_load_2addr_b32 v[21:22], v41 offset1:130
	ds_load_2addr_b32 v[25:26], v3 offset0:4 offset1:134
	ds_load_2addr_b32 v[23:24], v2 offset0:8 offset1:138
	ds_load_b32 v34, v41 offset:3120
                                        ; implicit-def: $vgpr36
                                        ; implicit-def: $vgpr40
	s_and_saveexec_b32 s1, s0
	s_cbranch_execz .LBB0_9
; %bb.8:
	ds_load_2addr_b32 v[14:15], v41 offset0:91 offset1:221
	ds_load_2addr_b32 v[10:11], v3 offset0:95 offset1:225
	;; [unrolled: 1-line block ×3, first 2 shown]
	ds_load_b32 v36, v41 offset:3484
	s_wait_dscnt 0x3
	v_lshrrev_b32_e32 v31, 16, v14
	v_lshrrev_b32_e32 v33, 16, v15
	s_wait_dscnt 0x2
	v_lshrrev_b32_e32 v32, 16, v10
	v_lshrrev_b32_e32 v30, 16, v11
	;; [unrolled: 3-line block ×3, first 2 shown]
	s_wait_dscnt 0x0
	v_lshrrev_b32_e32 v40, 16, v36
.LBB0_9:
	s_wait_alu 0xfffe
	s_or_b32 exec_lo, exec_lo, s1
	v_lshrrev_b16 v59, 11, v0
	v_lshrrev_b16 v43, 11, v1
	s_wait_dscnt 0x3
	v_lshrrev_b32_e32 v73, 16, v22
	s_wait_dscnt 0x2
	v_lshrrev_b32_e32 v74, 16, v25
	;; [unrolled: 2-line block ×3, first 2 shown]
	v_mul_lo_u16 v0, v59, 26
	v_mul_lo_u16 v1, v43, 26
	v_and_b32_e32 v59, 0xffff, v59
	s_wait_dscnt 0x0
	v_lshrrev_b32_e32 v78, 16, v34
	v_lshrrev_b32_e32 v75, 16, v26
	v_sub_nc_u16 v0, v38, v0
	v_sub_nc_u16 v2, v12, v1
	v_mul_u32_u24_e32 v59, 0xb6, v59
	v_lshrrev_b32_e32 v76, 16, v23
	v_lshrrev_b32_e32 v72, 16, v21
	v_and_b32_e32 v60, 0xff, v0
	v_and_b32_e32 v42, 0xff, v2
	s_delay_alu instid0(VALU_DEP_2) | instskip(NEXT) | instid1(VALU_DEP_2)
	v_mad_co_u64_u32 v[0:1], null, v60, 24, s[2:3]
	v_mad_co_u64_u32 v[17:18], null, v42, 24, s[2:3]
	v_add_nc_u32_e32 v59, v59, v60
	s_clause 0x3
	global_load_b128 v[4:7], v[0:1], off offset:52
	global_load_b64 v[19:20], v[0:1], off offset:68
	global_load_b128 v[0:3], v[17:18], off offset:52
	global_load_b64 v[17:18], v[17:18], off offset:68
	v_add_lshl_u32 v65, v27, v59, 2
	global_wb scope:SCOPE_SE
	s_wait_loadcnt 0x0
	s_barrier_signal -1
	s_barrier_wait -1
	global_inv scope:SCOPE_SE
	v_lshrrev_b32_e32 v71, 16, v4
	v_lshrrev_b32_e32 v70, 16, v5
	;; [unrolled: 1-line block ×12, first 2 shown]
	v_mul_f16_e32 v79, v73, v71
	v_mul_f16_e32 v80, v22, v71
	;; [unrolled: 1-line block ×22, first 2 shown]
	v_fma_f16 v22, v22, v4, -v79
	v_fmac_f16_e32 v80, v73, v4
	v_fma_f16 v25, v25, v5, -v81
	v_fmac_f16_e32 v82, v74, v5
	;; [unrolled: 2-line block ×4, first 2 shown]
	v_mul_f16_e32 v95, v30, v59
	v_mul_f16_e32 v97, v29, v60
	v_fma_f16 v26, v26, v6, -v83
	v_fmac_f16_e32 v84, v75, v6
	v_fma_f16 v23, v23, v7, -v85
	v_fmac_f16_e32 v86, v76, v7
	;; [unrolled: 2-line block ×4, first 2 shown]
	v_fmac_f16_e32 v96, v30, v2
	v_fmac_f16_e32 v98, v29, v3
	v_fma_f16 v9, v9, v17, -v99
	v_fmac_f16_e32 v100, v28, v17
	v_fma_f16 v28, v36, v18, -v101
	v_fmac_f16_e32 v102, v40, v18
	v_add_f16_e32 v29, v22, v34
	v_add_f16_e32 v30, v80, v90
	v_sub_f16_e32 v22, v22, v34
	v_add_f16_e32 v33, v25, v24
	v_add_f16_e32 v34, v82, v88
	v_fma_f16 v11, v11, v2, -v95
	v_fma_f16 v8, v8, v3, -v97
	v_sub_f16_e32 v32, v80, v90
	v_sub_f16_e32 v24, v25, v24
	;; [unrolled: 1-line block ×3, first 2 shown]
	v_add_f16_e32 v36, v26, v23
	v_add_f16_e32 v40, v84, v86
	v_sub_f16_e32 v23, v23, v26
	v_sub_f16_e32 v26, v86, v84
	v_add_f16_e32 v73, v15, v28
	v_add_f16_e32 v74, v92, v102
	v_add_f16_e32 v75, v10, v9
	v_add_f16_e32 v76, v94, v100
	v_add_f16_e32 v79, v33, v29
	v_add_f16_e32 v80, v34, v30
	v_sub_f16_e32 v15, v15, v28
	v_sub_f16_e32 v28, v92, v102
	;; [unrolled: 1-line block ×4, first 2 shown]
	v_add_f16_e32 v77, v11, v8
	v_add_f16_e32 v78, v96, v98
	v_sub_f16_e32 v8, v8, v11
	v_sub_f16_e32 v11, v98, v96
	;; [unrolled: 1-line block ×8, first 2 shown]
	v_add_f16_e32 v83, v23, v24
	v_add_f16_e32 v84, v26, v25
	v_sub_f16_e32 v85, v23, v24
	v_sub_f16_e32 v86, v26, v25
	;; [unrolled: 1-line block ×4, first 2 shown]
	v_add_f16_e32 v87, v75, v73
	v_add_f16_e32 v88, v76, v74
	v_add_f16_e32 v36, v36, v79
	v_add_f16_e32 v40, v40, v80
	v_sub_f16_e32 v23, v22, v23
	v_sub_f16_e32 v26, v32, v26
	;; [unrolled: 1-line block ×8, first 2 shown]
	v_add_f16_e32 v91, v8, v9
	v_add_f16_e32 v92, v11, v10
	v_sub_f16_e32 v93, v8, v9
	v_sub_f16_e32 v94, v11, v10
	;; [unrolled: 1-line block ×6, first 2 shown]
	v_mul_f16_e32 v8, 0x3a52, v29
	v_mul_f16_e32 v9, 0x3a52, v30
	v_mul_f16_e32 v10, 0x2b26, v33
	v_mul_f16_e32 v11, 0x2b26, v34
	v_mul_f16_e32 v29, 0xb846, v85
	v_mul_f16_e32 v30, 0xb846, v86
	v_mul_f16_e32 v79, 0x3b00, v24
	v_mul_f16_e32 v80, 0x3b00, v25
	v_add_f16_e32 v77, v77, v87
	v_add_f16_e32 v78, v78, v88
	;; [unrolled: 1-line block ×8, first 2 shown]
	v_mul_f16_e32 v15, 0x3a52, v73
	v_mul_f16_e32 v73, 0x3a52, v74
	;; [unrolled: 1-line block ×8, first 2 shown]
	v_fmamk_f16 v33, v33, 0x2b26, v8
	v_fmamk_f16 v34, v34, 0x2b26, v9
	v_fma_f16 v91, v81, 0x39e0, -v10
	v_fma_f16 v92, v82, 0x39e0, -v11
	;; [unrolled: 1-line block ×4, first 2 shown]
	v_fmamk_f16 v93, v23, 0x3574, v29
	v_fmamk_f16 v94, v26, 0x3574, v30
	v_fma_f16 v24, v24, 0x3b00, -v29
	v_fma_f16 v29, v25, 0x3b00, -v30
	;; [unrolled: 1-line block ×4, first 2 shown]
	v_add_f16_e32 v8, v14, v77
	v_add_f16_e32 v9, v31, v78
	v_fmamk_f16 v36, v36, 0xbcab, v21
	v_fmamk_f16 v40, v40, 0xbcab, v72
	v_fmamk_f16 v23, v75, 0x2b26, v15
	v_fmamk_f16 v25, v76, 0x2b26, v73
	v_fma_f16 v26, v89, 0x39e0, -v74
	v_fma_f16 v31, v90, 0x39e0, -v84
	;; [unrolled: 1-line block ×4, first 2 shown]
	v_fmamk_f16 v10, v95, 0x3574, v85
	v_fmamk_f16 v11, v96, 0x3574, v86
	v_fma_f16 v75, v97, 0x3b00, -v85
	v_fma_f16 v76, v98, 0x3b00, -v86
	;; [unrolled: 1-line block ×4, first 2 shown]
	v_fmac_f16_e32 v93, 0x370e, v22
	v_fmac_f16_e32 v94, 0x370e, v32
	;; [unrolled: 1-line block ×6, first 2 shown]
	v_fmamk_f16 v22, v77, 0xbcab, v8
	v_fmamk_f16 v32, v78, 0xbcab, v9
	v_pack_b32_f16 v77, v21, v72
	v_add_f16_e32 v21, v33, v36
	v_add_f16_e32 v33, v34, v40
	;; [unrolled: 1-line block ×6, first 2 shown]
	v_fmac_f16_e32 v10, 0x370e, v83
	v_fmac_f16_e32 v11, 0x370e, v28
	;; [unrolled: 1-line block ×6, first 2 shown]
	v_add_f16_e32 v23, v23, v22
	v_add_f16_e32 v25, v25, v32
	;; [unrolled: 1-line block ×7, first 2 shown]
	v_sub_f16_e32 v73, v33, v93
	v_add_f16_e32 v74, v79, v36
	v_sub_f16_e32 v80, v40, v30
	v_sub_f16_e32 v81, v34, v29
	v_add_f16_e32 v85, v24, v72
	v_add_f16_e32 v29, v29, v34
	v_sub_f16_e32 v34, v72, v24
	v_sub_f16_e32 v36, v36, v79
	v_add_f16_e32 v30, v30, v40
	v_sub_f16_e32 v40, v21, v94
	v_add_f16_e32 v33, v93, v33
	;; [unrolled: 2-line block ×3, first 2 shown]
	v_add_f16_e32 v21, v76, v78
	v_sub_f16_e32 v83, v31, v75
	v_sub_f16_e32 v22, v26, v15
	v_add_f16_e32 v82, v14, v28
	v_sub_f16_e32 v72, v23, v11
	v_pack_b32_f16 v31, v32, v73
	v_add_f16_e32 v73, v10, v25
	v_pack_b32_f16 v32, v74, v80
	v_pack_b32_f16 v74, v81, v85
	;; [unrolled: 1-line block ×5, first 2 shown]
	ds_store_2addr_b32 v65, v77, v31 offset1:26
	ds_store_2addr_b32 v65, v32, v74 offset0:52 offset1:78
	ds_store_2addr_b32 v65, v29, v30 offset0:104 offset1:130
	ds_store_b32 v65, v33 offset:624
	s_and_saveexec_b32 s1, s0
	s_cbranch_execz .LBB0_11
; %bb.10:
	v_and_b32_e32 v29, 0xffff, v43
	v_sub_f16_e32 v10, v25, v10
	v_add_f16_e32 v11, v11, v23
	v_sub_f16_e32 v14, v28, v14
	v_add_f16_e32 v15, v15, v26
	v_mul_u32_u24_e32 v29, 0xb6, v29
	v_perm_b32 v8, v9, v8, 0x5040100
	v_pack_b32_f16 v10, v11, v10
	v_perm_b32 v9, v84, v24, 0x5040100
	v_pack_b32_f16 v14, v15, v14
	v_add_nc_u32_e32 v23, v29, v42
	v_perm_b32 v25, v83, v21, 0x5040100
	v_perm_b32 v15, v82, v22, 0x5040100
	s_delay_alu instid0(VALU_DEP_3)
	v_add_lshl_u32 v11, v27, v23, 2
	v_perm_b32 v23, v73, v72, 0x5040100
	ds_store_2addr_b32 v11, v8, v10 offset1:26
	ds_store_2addr_b32 v11, v14, v9 offset0:52 offset1:78
	ds_store_2addr_b32 v11, v25, v15 offset0:104 offset1:130
	ds_store_b32 v11, v23 offset:624
.LBB0_11:
	s_wait_alu 0xfffe
	s_or_b32 exec_lo, exec_lo, s1
	v_lshlrev_b64_e32 v[8:9], 4, v[12:13]
	v_lshlrev_b32_e32 v10, 4, v38
	global_wb scope:SCOPE_SE
	s_wait_dscnt 0x0
	s_barrier_signal -1
	s_barrier_wait -1
	global_inv scope:SCOPE_SE
	v_add_co_u32 v8, s1, s2, v8
	global_load_b128 v[12:15], v10, s[2:3] offset:676
	s_wait_alu 0xf1ff
	v_add_co_ci_u32_e64 v9, s1, s3, v9, s1
	v_add_nc_u32_e32 v23, 0x200, v41
	v_add_nc_u32_e32 v29, 0x400, v41
	;; [unrolled: 1-line block ×3, first 2 shown]
	global_load_b128 v[8:11], v[8:9], off offset:676
	v_add_nc_u32_e32 v33, 0xa00, v41
	ds_load_2addr_b32 v[25:26], v41 offset1:91
	ds_load_2addr_b32 v[27:28], v23 offset0:54 offset1:145
	ds_load_2addr_b32 v[29:30], v29 offset0:108 offset1:199
	;; [unrolled: 1-line block ×4, first 2 shown]
	v_lshl_add_u32 v40, v38, 2, v39
	s_delay_alu instid0(VALU_DEP_1)
	v_add_nc_u32_e32 v33, 0x400, v40
	v_add_nc_u32_e32 v34, 0x600, v40
	;; [unrolled: 1-line block ×3, first 2 shown]
	s_wait_dscnt 0x3
	v_lshrrev_b32_e32 v23, 16, v27
	s_wait_dscnt 0x2
	v_lshrrev_b32_e32 v89, 16, v29
	;; [unrolled: 2-line block ×4, first 2 shown]
	v_lshrrev_b32_e32 v92, 16, v28
	v_lshrrev_b32_e32 v93, 16, v30
	;; [unrolled: 1-line block ×6, first 2 shown]
	s_wait_loadcnt 0x1
	v_lshrrev_b32_e32 v80, 16, v12
	v_lshrrev_b32_e32 v81, 16, v13
	;; [unrolled: 1-line block ×4, first 2 shown]
	s_delay_alu instid0(VALU_DEP_4)
	v_mul_f16_e32 v96, v23, v80
	v_mul_f16_e32 v97, v27, v80
	;; [unrolled: 1-line block ×8, first 2 shown]
	s_wait_loadcnt 0x0
	v_lshrrev_b32_e32 v78, 16, v8
	v_lshrrev_b32_e32 v77, 16, v9
	;; [unrolled: 1-line block ×4, first 2 shown]
	v_fma_f16 v27, v27, v12, -v96
	v_fmac_f16_e32 v97, v23, v12
	v_fma_f16 v23, v29, v13, -v98
	v_fmac_f16_e32 v99, v89, v13
	v_fma_f16 v29, v31, v14, -v100
	v_fmac_f16_e32 v101, v90, v14
	v_fma_f16 v31, v87, v15, -v102
	v_fmac_f16_e32 v103, v91, v15
	v_mul_f16_e32 v87, v92, v78
	v_mul_f16_e32 v89, v28, v78
	;; [unrolled: 1-line block ×8, first 2 shown]
	v_add_f16_e32 v104, v25, v27
	v_add_f16_e32 v105, v23, v29
	;; [unrolled: 1-line block ×5, first 2 shown]
	v_sub_f16_e32 v117, v97, v99
	v_sub_f16_e32 v118, v103, v101
	v_fma_f16 v87, v28, v8, -v87
	v_fmac_f16_e32 v89, v92, v8
	v_fma_f16 v92, v30, v9, -v90
	v_fmac_f16_e32 v96, v93, v9
	;; [unrolled: 2-line block ×3, first 2 shown]
	v_sub_f16_e32 v111, v23, v27
	v_sub_f16_e32 v112, v29, v31
	v_fma_f16 v100, v88, v11, -v100
	v_fmac_f16_e32 v102, v95, v11
	v_sub_f16_e32 v106, v97, v103
	v_sub_f16_e32 v107, v99, v101
	;; [unrolled: 1-line block ×6, first 2 shown]
	v_add_f16_e32 v119, v97, v103
	v_sub_f16_e32 v97, v99, v97
	v_sub_f16_e32 v120, v101, v103
	v_add_f16_e32 v23, v104, v23
	v_fma_f16 v28, -0.5, v105, v25
	v_fma_f16 v27, -0.5, v110, v25
	v_add_f16_e32 v25, v113, v99
	v_fma_f16 v88, -0.5, v114, v86
	v_add_f16_e32 v99, v117, v118
	v_add_f16_e32 v93, v26, v87
	;; [unrolled: 1-line block ×9, first 2 shown]
	v_fmac_f16_e32 v86, -0.5, v119
	v_add_f16_e32 v97, v97, v120
	v_sub_f16_e32 v105, v89, v102
	v_sub_f16_e32 v109, v87, v92
	v_sub_f16_e32 v112, v92, v87
	v_sub_f16_e32 v118, v87, v100
	v_sub_f16_e32 v87, v89, v96
	v_sub_f16_e32 v120, v102, v98
	v_sub_f16_e32 v122, v96, v89
	v_add_f16_e32 v124, v23, v29
	v_add_f16_e32 v93, v93, v92
	v_fma_f16 v23, -0.5, v94, v26
	v_add_f16_e32 v94, v114, v96
	v_fma_f16 v89, -0.5, v117, v85
	v_sub_f16_e32 v108, v96, v98
	v_sub_f16_e32 v119, v92, v32
	v_add_f16_e32 v25, v25, v101
	v_fmac_f16_e32 v26, -0.5, v111
	v_fmac_f16_e32 v85, -0.5, v121
	v_fmamk_f16 v29, v106, 0x3b9c, v28
	v_fmac_f16_e32 v28, 0xbb9c, v106
	v_fmamk_f16 v91, v115, 0xbb9c, v88
	v_sub_f16_e32 v110, v100, v32
	v_sub_f16_e32 v113, v32, v100
	;; [unrolled: 1-line block ×3, first 2 shown]
	v_fmamk_f16 v30, v107, 0xbb9c, v27
	v_fmamk_f16 v90, v116, 0x3b9c, v86
	v_add_f16_e32 v96, v87, v120
	v_add_f16_e32 v87, v124, v31
	;; [unrolled: 1-line block ×3, first 2 shown]
	v_fmamk_f16 v32, v105, 0x3b9c, v23
	v_add_f16_e32 v98, v94, v98
	v_fmamk_f16 v94, v118, 0xbb9c, v89
	v_fmac_f16_e32 v27, 0x3b9c, v107
	v_fmac_f16_e32 v86, 0xbb9c, v116
	v_add_f16_e32 v92, v25, v103
	v_fmamk_f16 v25, v108, 0xbb9c, v26
	v_fmamk_f16 v93, v119, 0x3b9c, v85
	v_fmac_f16_e32 v88, 0x3b9c, v115
	v_fmac_f16_e32 v26, 0x3b9c, v108
	;; [unrolled: 1-line block ×8, first 2 shown]
	v_add_f16_e32 v101, v109, v110
	v_fmac_f16_e32 v30, 0x38b4, v106
	v_fmac_f16_e32 v90, 0xb8b4, v115
	;; [unrolled: 1-line block ×4, first 2 shown]
	v_add_f16_e32 v109, v112, v113
	v_add_f16_e32 v110, v122, v123
	v_fmac_f16_e32 v27, 0xb8b4, v106
	v_fmac_f16_e32 v86, 0x38b4, v115
	;; [unrolled: 1-line block ×12, first 2 shown]
	v_add_f16_e32 v31, v31, v100
	v_add_f16_e32 v95, v98, v102
	v_fmac_f16_e32 v30, 0x34f2, v104
	v_fmac_f16_e32 v90, 0x34f2, v97
	;; [unrolled: 1-line block ×11, first 2 shown]
	v_pack_b32_f16 v97, v87, v92
	v_fmac_f16_e32 v23, 0x34f2, v101
	v_fmac_f16_e32 v89, 0x34f2, v96
	v_pack_b32_f16 v98, v29, v91
	v_pack_b32_f16 v96, v31, v95
	v_pack_b32_f16 v99, v30, v90
	v_pack_b32_f16 v101, v32, v94
	v_pack_b32_f16 v100, v27, v86
	v_pack_b32_f16 v103, v25, v93
	v_pack_b32_f16 v102, v28, v88
	v_pack_b32_f16 v104, v26, v85
	v_pack_b32_f16 v105, v23, v89
	ds_store_b32 v40, v97
	ds_store_2addr_b32 v40, v96, v98 offset0:91 offset1:182
	ds_store_2addr_b32 v33, v101, v99 offset0:17 offset1:108
	;; [unrolled: 1-line block ×4, first 2 shown]
	ds_store_b32 v40, v105 offset:3276
	global_wb scope:SCOPE_SE
	s_wait_dscnt 0x0
	s_barrier_signal -1
	s_barrier_wait -1
	global_inv scope:SCOPE_SE
	s_and_saveexec_b32 s1, vcc_lo
	s_cbranch_execz .LBB0_13
; %bb.12:
	global_load_b32 v96, v37, s[20:21] offset:3640
	s_add_nc_u64 s[2:3], s[20:21], 0xe38
	s_clause 0xb
	global_load_b32 v108, v37, s[2:3] offset:280
	global_load_b32 v109, v37, s[2:3] offset:560
	;; [unrolled: 1-line block ×12, first 2 shown]
	ds_load_b32 v97, v40
	v_add_nc_u32_e32 v120, 0x200, v40
	v_add_nc_u32_e32 v121, 0xc00, v40
	s_wait_dscnt 0x0
	v_lshrrev_b32_e32 v98, 16, v97
	s_wait_loadcnt 0xb
	v_lshrrev_b32_e32 v122, 16, v108
	s_wait_loadcnt 0xa
	;; [unrolled: 2-line block ×8, first 2 shown]
	v_lshrrev_b32_e32 v129, 16, v115
	v_lshrrev_b32_e32 v99, 16, v96
	s_wait_loadcnt 0x3
	v_lshrrev_b32_e32 v130, 16, v116
	s_wait_loadcnt 0x2
	;; [unrolled: 2-line block ×4, first 2 shown]
	v_lshrrev_b32_e32 v133, 16, v119
	v_mul_f16_e32 v100, v98, v99
	v_mul_f16_e32 v99, v97, v99
	s_delay_alu instid0(VALU_DEP_2) | instskip(NEXT) | instid1(VALU_DEP_2)
	v_fma_f16 v97, v97, v96, -v100
	v_fmac_f16_e32 v99, v98, v96
	s_delay_alu instid0(VALU_DEP_1)
	v_pack_b32_f16 v96, v97, v99
	ds_store_b32 v40, v96
	ds_load_2addr_b32 v[96:97], v40 offset0:70 offset1:140
	ds_load_2addr_b32 v[98:99], v120 offset0:82 offset1:152
	;; [unrolled: 1-line block ×6, first 2 shown]
	s_wait_dscnt 0x5
	v_lshrrev_b32_e32 v134, 16, v96
	v_lshrrev_b32_e32 v136, 16, v97
	s_wait_dscnt 0x4
	v_lshrrev_b32_e32 v138, 16, v98
	v_lshrrev_b32_e32 v140, 16, v99
	;; [unrolled: 3-line block ×5, first 2 shown]
	v_mul_f16_e64 v135, v96, v122
	v_mul_f16_e64 v137, v97, v123
	s_wait_dscnt 0x0
	v_lshrrev_b32_e32 v154, 16, v106
	v_lshrrev_b32_e32 v156, 16, v107
	v_mul_f16_e64 v122, v134, v122
	v_mul_f16_e64 v123, v136, v123
	v_mul_f16_e64 v139, v98, v124
	v_mul_f16_e64 v141, v99, v125
	v_mul_f16_e64 v124, v138, v124
	v_mul_f16_e64 v125, v140, v125
	v_mul_f16_e64 v143, v100, v126
	v_mul_f16_e64 v145, v101, v127
	v_mul_f16_e64 v126, v142, v126
	v_mul_f16_e64 v127, v144, v127
	v_mul_f16_e64 v147, v102, v128
	v_mul_f16_e64 v149, v103, v129
	v_mul_f16_e64 v128, v146, v128
	v_mul_f16_e64 v129, v148, v129
	v_mul_f16_e64 v151, v104, v130
	v_mul_f16_e64 v153, v105, v131
	v_mul_f16_e64 v130, v150, v130
	v_mul_f16_e64 v131, v152, v131
	v_mul_f16_e64 v155, v106, v132
	v_mul_f16_e64 v157, v107, v133
	v_fmac_f16_e64 v135, v134, v108
	v_fmac_f16_e64 v137, v136, v109
	v_mul_f16_e64 v132, v154, v132
	v_mul_f16_e64 v133, v156, v133
	v_fma_f16 v96, v96, v108, -v122
	v_fma_f16 v97, v97, v109, -v123
	v_fmac_f16_e64 v139, v138, v110
	v_fmac_f16_e64 v141, v140, v111
	v_fma_f16 v98, v98, v110, -v124
	v_fma_f16 v99, v99, v111, -v125
	v_fmac_f16_e64 v143, v142, v112
	v_fmac_f16_e64 v145, v144, v113
	;; [unrolled: 4-line block ×5, first 2 shown]
	v_fma_f16 v106, v106, v118, -v132
	v_fma_f16 v107, v107, v119, -v133
	v_pack_b32_f16 v96, v96, v135
	v_pack_b32_f16 v97, v97, v137
	;; [unrolled: 1-line block ×12, first 2 shown]
	ds_store_2addr_b32 v40, v96, v97 offset0:70 offset1:140
	ds_store_2addr_b32 v120, v98, v99 offset0:82 offset1:152
	;; [unrolled: 1-line block ×6, first 2 shown]
.LBB0_13:
	s_wait_alu 0xfffe
	s_or_b32 exec_lo, exec_lo, s1
	global_wb scope:SCOPE_SE
	s_wait_dscnt 0x0
	s_barrier_signal -1
	s_barrier_wait -1
	global_inv scope:SCOPE_SE
	s_and_saveexec_b32 s1, vcc_lo
	s_cbranch_execz .LBB0_15
; %bb.14:
	v_add_nc_u32_e32 v21, 0x200, v40
	v_add_nc_u32_e32 v22, 0x400, v40
	;; [unrolled: 1-line block ×3, first 2 shown]
	ds_load_b32 v87, v40
	ds_load_2addr_b32 v[29:30], v40 offset0:70 offset1:140
	ds_load_2addr_b32 v[27:28], v21 offset0:82 offset1:152
	v_add_nc_u32_e32 v21, 0x800, v40
	ds_load_2addr_b32 v[31:32], v22 offset0:94 offset1:164
	v_add_nc_u32_e32 v22, 0xc00, v40
	ds_load_2addr_b32 v[25:26], v23 offset0:106 offset1:176
	ds_load_2addr_b32 v[23:24], v21 offset0:118 offset1:188
	ds_load_2addr_b32 v[21:22], v22 offset0:2 offset1:72
	s_wait_dscnt 0x6
	v_lshrrev_b32_e32 v92, 16, v87
	s_wait_dscnt 0x5
	v_lshrrev_b32_e32 v91, 16, v29
	v_lshrrev_b32_e32 v90, 16, v30
	s_wait_dscnt 0x4
	v_lshrrev_b32_e32 v86, 16, v27
	;; [unrolled: 3-line block ×6, first 2 shown]
	v_lshrrev_b32_e32 v82, 16, v22
.LBB0_15:
	s_wait_alu 0xfffe
	s_or_b32 exec_lo, exec_lo, s1
	s_delay_alu instid0(VALU_DEP_1)
	v_sub_f16_e64 v146, v91, v82
	v_add_f16_e32 v124, v82, v91
	v_add_f16_e32 v120, v22, v29
	v_sub_f16_e64 v148, v90, v83
	v_sub_f16_e64 v149, v29, v22
	v_mul_f16_e64 v99, 0xb770, v146
	v_mul_f16_e64 v105, 0xba95, v146
	v_mul_f16_e32 v108, 0x388b, v124
	v_add_f16_e64 v132, v83, v90
	v_add_f16_e32 v127, v21, v30
	v_fma_f16 v33, v120, 0x3b15, -v99
	v_mul_f16_e64 v101, 0xba95, v148
	v_mul_f16_e32 v100, 0x3b15, v124
	v_mul_f16_e32 v117, 0x2fb7, v124
	v_fma_f16 v36, v120, 0x388b, -v105
	v_fma_f16 v96, 0xba95, v149, v108
	v_add_f16_e32 v33, v87, v33
	v_sub_f16_e64 v151, v30, v21
	v_mul_f16_e64 v109, 0xbb7b, v148
	v_fma_f16 v103, v127, 0x388b, -v101
	v_mul_f16_e64 v114, 0xb5ac, v132
	v_mul_f16_e64 v112, 0xbbf1, v146
	v_fma_f16 v34, 0xb770, v149, v100
	v_add_f16_e32 v36, v87, v36
	v_add_f16_e32 v96, v92, v96
	v_fma_f16 v98, 0xbbf1, v149, v117
	v_mul_f16_e64 v102, 0x388b, v132
	v_fma_f16 v106, v127, 0xb5ac, -v109
	v_add_f16_e32 v33, v103, v33
	v_fma_f16 v103, 0xbb7b, v151, v114
	v_mul_f16_e64 v128, 0xbbc4, v132
	v_sub_f16_e64 v150, v86, v84
	v_add_f16_e32 v34, v92, v34
	v_fma_f16 v97, v120, 0x2fb7, -v112
	v_add_f16_e32 v98, v92, v98
	v_mul_f16_e64 v119, 0xb3a8, v148
	v_fma_f16 v104, 0xba95, v151, v102
	v_add_f16_e32 v36, v106, v36
	v_add_f16_e32 v96, v103, v96
	v_add_f16_e64 v135, v84, v86
	v_fma_f16 v106, 0xb3a8, v151, v128
	v_add_f16_e64 v131, v24, v27
	v_mul_f16_e64 v103, 0xbbf1, v150
	v_add_f16_e32 v97, v87, v97
	v_fma_f16 v107, v127, 0xbbc4, -v119
	v_add_f16_e32 v34, v104, v34
	v_sub_f16_e64 v153, v27, v24
	v_mul_f16_e64 v104, 0x2fb7, v135
	v_add_f16_e32 v98, v106, v98
	v_fma_f16 v106, v131, 0x2fb7, -v103
	v_mul_f16_e64 v125, 0x3b7b, v150
	v_add_f16_e32 v97, v107, v97
	v_mul_f16_e64 v115, 0xb3a8, v150
	v_mul_f16_e64 v118, 0xbbc4, v135
	v_fma_f16 v107, 0xbbf1, v153, v104
	v_add_f16_e32 v33, v106, v33
	v_fma_f16 v106, v131, 0xb5ac, -v125
	v_sub_f16_e64 v152, v88, v89
	v_add_f16_e64 v137, v89, v88
	v_fma_f16 v110, v131, 0xbbc4, -v115
	v_fma_f16 v111, 0xb3a8, v153, v118
	v_add_f16_e32 v34, v107, v34
	v_mul_f16_e64 v134, 0xb5ac, v135
	v_add_f16_e32 v97, v106, v97
	v_add_f16_e64 v136, v23, v28
	v_sub_f16_e64 v155, v28, v23
	v_mul_f16_e64 v106, 0xbb7b, v152
	v_mul_f16_e64 v107, 0xb5ac, v137
	;; [unrolled: 1-line block ×3, first 2 shown]
	v_add_f16_e32 v36, v110, v36
	v_add_f16_e32 v96, v111, v96
	v_mul_f16_e64 v126, 0xb9fd, v137
	v_fma_f16 v110, 0x3b7b, v153, v134
	v_fma_f16 v111, v136, 0xb5ac, -v106
	v_fma_f16 v116, 0xbb7b, v155, v107
	v_fma_f16 v121, v136, 0xb9fd, -v113
	v_mul_f16_e64 v130, 0x3770, v152
	v_sub_f16_e64 v154, v95, v85
	v_add_f16_e64 v142, v85, v95
	v_fma_f16 v122, 0x394e, v155, v126
	v_add_f16_e32 v98, v110, v98
	v_add_f16_e32 v33, v111, v33
	;; [unrolled: 1-line block ×4, first 2 shown]
	v_mul_f16_e64 v139, 0x3b15, v137
	v_add_f16_e64 v140, v26, v31
	v_sub_f16_e64 v157, v31, v26
	v_mul_f16_e64 v110, 0xb94e, v154
	v_mul_f16_e64 v111, 0xb9fd, v142
	v_fma_f16 v116, v136, 0x3b15, -v130
	v_mul_f16_e64 v121, 0x3bf1, v154
	v_add_f16_e32 v96, v122, v96
	v_fma_f16 v122, 0x3770, v155, v139
	v_fma_f16 v123, v140, 0xb9fd, -v110
	v_fma_f16 v129, 0xb94e, v157, v111
	v_add_f16_e32 v97, v116, v97
	v_fma_f16 v116, v140, 0x2fb7, -v121
	v_mul_f16_e64 v133, 0x2fb7, v142
	v_sub_f16_e64 v156, v94, v93
	v_mul_f16_e64 v138, 0xba95, v154
	v_mul_f16_e64 v143, 0x388b, v142
	v_add_f16_e32 v98, v122, v98
	v_add_f16_e32 v33, v123, v33
	v_add_f16_e64 v159, v129, v34
	v_add_f16_e32 v36, v116, v36
	v_fma_f16 v34, 0x3bf1, v157, v133
	v_add_f16_e64 v144, v25, v32
	v_mul_f16_e64 v116, 0xb3a8, v156
	v_fma_f16 v122, v140, 0x388b, -v138
	v_fma_f16 v123, 0xba95, v157, v143
	v_add_f16_e64 v147, v93, v94
	v_add_f16_e32 v96, v34, v96
	v_fma_f16 v34, v144, 0xbbc4, -v116
	v_add_f16_e32 v97, v122, v97
	v_add_f16_e64 v160, v123, v98
	v_sub_f16_e64 v158, v32, v25
	v_mul_f16_e64 v123, 0xbbc4, v147
	v_mul_f16_e64 v122, 0x3770, v156
	v_mul_f16_e64 v129, 0x3b15, v147
	v_mul_f16_e64 v141, 0xb94e, v156
	v_mul_f16_e64 v145, 0xb9fd, v147
	v_add_f16_e32 v34, v34, v33
	v_fma_f16 v33, 0xb3a8, v158, v123
	v_fma_f16 v161, v144, 0x3b15, -v122
	v_fma_f16 v162, 0x3770, v158, v129
	v_fma_f16 v163, v144, 0xb9fd, -v141
	v_fma_f16 v164, 0xb94e, v158, v145
	v_add_f16_e64 v98, v33, v159
	v_add_f16_e64 v33, v161, v36
	;; [unrolled: 1-line block ×5, first 2 shown]
	global_wb scope:SCOPE_SE
	s_barrier_signal -1
	s_barrier_wait -1
	global_inv scope:SCOPE_SE
	s_and_saveexec_b32 s1, vcc_lo
	s_cbranch_execz .LBB0_17
; %bb.16:
	v_mul_f16_e64 v181, 0xbb7b, v149
	v_mul_f16_e64 v187, 0x394e, v151
	v_mul_f16_e64 v192, 0x3770, v153
	v_mul_f16_e64 v196, 0xbbf1, v155
	v_mul_f16_e64 v200, 0x33a8, v157
	v_fma_f16 v186, 0xb5ac, v124, v181
	v_fma_f16 v191, 0xb9fd, v132, v187
	v_mul_f16_e64 v207, 0xb94e, v149
	v_mul_f16_e64 v211, 0x3bf1, v151
	;; [unrolled: 1-line block ×3, first 2 shown]
	v_add_f16_e64 v186, v92, v186
	v_mul_f16_e64 v199, 0xbb7b, v146
	v_fma_f16 v210, 0xb9fd, v124, v207
	v_fma_f16 v213, 0x2fb7, v132, v211
	v_mul_f16_e64 v216, 0x3770, v157
	v_add_f16_e64 v186, v191, v186
	v_fma_f16 v191, 0x3b15, v135, v192
	v_add_f16_e64 v210, v92, v210
	v_fma_f16 v202, v120, 0xb5ac, -v199
	v_mul_f16_e64 v203, 0x394e, v148
	v_mul_f16_e64 v160, 0xb770, v149
	v_add_f16_e64 v186, v191, v186
	v_fma_f16 v191, 0x2fb7, v137, v196
	v_mul_f16_e64 v161, 0x388b, v120
	v_mul_f16_e64 v162, 0xba95, v149
	;; [unrolled: 1-line block ×4, first 2 shown]
	v_add_f16_e64 v186, v191, v186
	v_fma_f16 v191, 0xbbc4, v142, v200
	v_add_f16_e64 v202, v87, v202
	v_fma_f16 v205, v127, 0xb9fd, -v203
	v_mul_f16_e64 v206, 0x3770, v150
	v_mul_f16_e64 v166, 0xba95, v151
	v_add_f16_e64 v186, v191, v186
	v_mul_f16_e64 v191, 0x3a95, v158
	v_mul_f16_e64 v167, 0xb5ac, v127
	;; [unrolled: 1-line block ×4, first 2 shown]
	v_fma_f16 v223, 0xbbc4, v124, v149
	v_fma_f16 v209, 0x388b, v147, v191
	v_mul_f16_e64 v151, 0x3770, v151
	v_fma_f16 v149, v124, 0xbbc4, -v149
	v_add_f16_e64 v105, v161, v105
	v_add_f16_e32 v29, v29, v87
	v_add_f16_e64 v186, v209, v186
	v_add_f16_e64 v209, v213, v210
	v_fma_f16 v210, 0x388b, v135, v214
	v_mul_f16_e64 v213, 0x33a8, v155
	v_add_f16_e32 v91, v91, v92
	v_add_f16_e64 v202, v205, v202
	v_fma_f16 v205, v131, 0x3b15, -v206
	v_add_f16_e64 v209, v210, v209
	v_fma_f16 v210, 0xbbc4, v137, v213
	v_mul_f16_e64 v208, 0xbbf1, v152
	v_mul_f16_e64 v172, 0xbbf1, v153
	;; [unrolled: 1-line block ×4, first 2 shown]
	v_add_f16_e64 v209, v210, v209
	v_fma_f16 v210, 0x3b15, v142, v216
	v_mul_f16_e64 v176, 0x3b7b, v153
	v_add_f16_e64 v223, v92, v223
	v_fma_f16 v225, 0x3b15, v132, v151
	v_mul_f16_e64 v153, 0xb94e, v153
	v_add_f16_e64 v209, v210, v209
	v_mul_f16_e64 v210, 0xbb7b, v158
	v_add_f16_e64 v149, v92, v149
	v_fma_f16 v151, v132, 0x3b15, -v151
	v_add_f16_e32 v105, v87, v105
	v_add_f16_e64 v109, v167, v109
	v_fma_f16 v222, 0xb5ac, v147, v210
	v_add_f16_e32 v29, v30, v29
	v_add_f16_e32 v30, v90, v91
	v_add_f16_e64 v202, v205, v202
	v_fma_f16 v205, v136, 0x2fb7, -v208
	v_mul_f16_e64 v212, 0x33a8, v154
	v_mul_f16_e64 v178, 0xbb7b, v155
	;; [unrolled: 1-line block ×6, first 2 shown]
	v_add_f16_e64 v209, v222, v209
	v_add_f16_e64 v222, v225, v223
	v_fma_f16 v223, 0xb9fd, v135, v153
	v_mul_f16_e64 v155, 0x3a95, v155
	v_mul_f16_e64 v146, 0xb3a8, v146
	v_add_f16_e64 v149, v151, v149
	v_fma_f16 v151, v135, 0xb9fd, -v153
	v_add_f16_e32 v105, v109, v105
	v_add_f16_e64 v109, v173, v115
	v_add_f16_e32 v27, v27, v29
	v_add_f16_e32 v29, v86, v30
	v_add_f16_e64 v202, v205, v202
	v_fma_f16 v205, v140, 0xbbc4, -v212
	v_mul_f16_e64 v185, 0xb94e, v157
	v_mul_f16_e64 v188, 0x2fb7, v140
	;; [unrolled: 1-line block ×5, first 2 shown]
	v_add_f16_e64 v222, v223, v222
	v_fma_f16 v223, 0x388b, v137, v155
	v_mul_f16_e64 v157, 0xbb7b, v157
	v_fma_f16 v225, v120, 0xbbc4, -v146
	v_mul_f16_e64 v148, 0x3770, v148
	v_add_f16_e64 v149, v151, v149
	v_fma_f16 v151, v137, 0x388b, -v155
	v_fmac_f16_e64 v146, 0xbbc4, v120
	v_add_f16_e32 v105, v109, v105
	v_add_f16_e64 v109, v179, v113
	v_add_f16_e32 v27, v28, v27
	v_add_f16_e32 v28, v88, v29
	v_add_f16_e64 v202, v205, v202
	v_mul_f16_e64 v205, 0x3a95, v156
	v_mul_f16_e64 v159, 0x3b15, v120
	;; [unrolled: 1-line block ×7, first 2 shown]
	v_add_f16_e64 v222, v223, v222
	v_fma_f16 v223, 0xb5ac, v142, v157
	v_add_f16_e64 v225, v87, v225
	v_fma_f16 v227, v127, 0x3b15, -v148
	v_mul_f16_e64 v150, 0xb94e, v150
	v_mul_f16_e64 v158, 0x3bf1, v158
	v_add_f16_e64 v149, v151, v149
	v_fma_f16 v151, v142, 0xb5ac, -v157
	v_add_f16_e64 v146, v87, v146
	v_fmac_f16_e64 v148, 0x3b15, v127
	v_fma_f16 v157, v124, 0xb9fd, -v207
	v_fma_f16 v124, v124, 0xb5ac, -v181
	v_add_f16_e32 v90, v109, v105
	v_add_f16_e64 v91, v188, v121
	v_add_f16_e32 v27, v31, v27
	v_add_f16_e32 v28, v95, v28
	v_fma_f16 v217, v144, 0x388b, -v205
	v_fma_f16 v218, v120, 0xb9fd, -v215
	v_mul_f16_e64 v165, 0x388b, v127
	v_add_f16_e64 v222, v223, v222
	v_add_f16_e64 v223, v227, v225
	v_fma_f16 v225, v131, 0xb9fd, -v150
	v_add_f16_e64 v149, v151, v149
	v_fma_f16 v151, v147, 0x2fb7, -v158
	v_add_f16_e64 v146, v148, v146
	v_fmac_f16_e64 v150, 0xb9fd, v131
	v_add_f16_e64 v148, v92, v157
	v_fma_f16 v157, v132, 0x2fb7, -v211
	v_fmac_f16_e64 v215, 0xb9fd, v120
	v_add_f16_e32 v124, v92, v124
	v_fma_f16 v132, v132, 0xb9fd, -v187
	v_fmac_f16_e64 v199, 0xb5ac, v120
	v_add_f16_e64 v112, v163, v112
	v_sub_f16_e64 v30, v100, v160
	v_add_f16_e32 v86, v91, v90
	v_add_f16_e64 v90, v159, v99
	v_add_f16_e32 v27, v32, v27
	v_add_f16_e32 v28, v94, v28
	v_mul_f16_e64 v169, 0xbbc4, v127
	v_sub_f16_e64 v117, v117, v164
	v_sub_f16_e64 v108, v108, v162
	v_add_f16_e64 v202, v217, v202
	v_add_f16_e64 v217, v87, v218
	v_fma_f16 v218, v127, 0x2fb7, -v219
	v_mul_f16_e64 v171, 0x2fb7, v131
	v_add_f16_e64 v149, v151, v149
	v_add_f16_e64 v146, v150, v146
	v_fma_f16 v150, v135, 0x388b, -v214
	v_add_f16_e64 v151, v87, v215
	v_add_f16_e64 v124, v132, v124
	v_fma_f16 v132, v135, 0x3b15, -v192
	v_add_f16_e64 v135, v87, v199
	v_add_f16_e32 v112, v87, v112
	v_add_f16_e32 v29, v92, v30
	v_sub_f16_e64 v30, v102, v166
	v_add_f16_e32 v87, v87, v90
	v_add_f16_e64 v31, v165, v101
	v_add_f16_e32 v25, v25, v27
	v_add_f16_e32 v27, v93, v28
	v_mul_f16_e64 v175, 0xb5ac, v131
	v_add_f16_e32 v117, v92, v117
	v_sub_f16_e64 v128, v128, v170
	v_add_f16_e64 v119, v169, v119
	v_add_f16_e32 v108, v92, v108
	v_sub_f16_e64 v114, v114, v168
	v_add_f16_e64 v217, v218, v217
	v_fma_f16 v218, v131, 0x388b, -v220
	v_mul_f16_e64 v221, 0x33a8, v152
	v_fmac_f16_e64 v219, 0x2fb7, v127
	v_fmac_f16_e64 v203, 0xb9fd, v127
	v_mul_f16_e64 v177, 0xb5ac, v136
	v_add_f16_e32 v29, v30, v29
	v_sub_f16_e64 v30, v104, v172
	v_add_f16_e32 v31, v31, v87
	v_add_f16_e64 v32, v171, v103
	v_add_f16_e32 v25, v26, v25
	v_add_f16_e32 v26, v85, v27
	v_mul_f16_e64 v182, 0x3b15, v136
	v_add_f16_e64 v117, v128, v117
	v_sub_f16_e64 v128, v134, v176
	v_add_f16_e32 v112, v119, v112
	v_add_f16_e64 v119, v175, v125
	v_add_f16_e32 v108, v114, v108
	v_sub_f16_e64 v114, v118, v174
	v_add_f16_e64 v217, v218, v217
	v_fma_f16 v218, v136, 0xbbc4, -v221
	v_mul_f16_e64 v224, 0x3770, v154
	v_add_f16_e64 v148, v157, v148
	v_add_f16_e64 v151, v219, v151
	v_fmac_f16_e64 v220, 0x388b, v131
	v_add_f16_e64 v124, v132, v124
	v_fma_f16 v127, v137, 0x2fb7, -v196
	v_add_f16_e64 v132, v203, v135
	v_fmac_f16_e64 v206, 0x3b15, v131
	v_mul_f16_e64 v152, 0x3a95, v152
	v_mul_f16_e64 v184, 0xb9fd, v140
	v_add_f16_e32 v29, v30, v29
	v_sub_f16_e64 v28, v107, v178
	v_add_f16_e32 v30, v32, v31
	v_add_f16_e64 v31, v177, v106
	v_add_f16_e32 v23, v23, v25
	v_add_f16_e32 v25, v89, v26
	v_mul_f16_e64 v190, 0x388b, v140
	v_add_f16_e64 v117, v128, v117
	v_sub_f16_e64 v128, v139, v183
	v_add_f16_e32 v112, v119, v112
	v_add_f16_e64 v119, v182, v130
	v_add_f16_e32 v108, v114, v108
	v_sub_f16_e64 v114, v126, v180
	v_add_f16_e64 v217, v218, v217
	v_fma_f16 v218, v140, 0x3b15, -v224
	v_add_f16_e64 v148, v150, v148
	v_fma_f16 v150, v137, 0xbbc4, -v213
	v_add_f16_e64 v151, v220, v151
	v_fmac_f16_e64 v221, 0xbbc4, v136
	v_add_f16_e32 v124, v127, v124
	v_fma_f16 v127, v142, 0xbbc4, -v200
	v_add_f16_e64 v131, v206, v132
	v_fmac_f16_e64 v208, 0x2fb7, v136
	v_add_f16_e64 v223, v225, v223
	v_fma_f16 v225, v136, 0x388b, -v152
	v_mul_f16_e64 v154, 0xbb7b, v154
	v_fmac_f16_e64 v152, 0x388b, v136
	v_mul_f16_e64 v194, 0xbbc4, v144
	v_add_f16_e32 v27, v28, v29
	v_sub_f16_e64 v28, v111, v185
	v_add_f16_e32 v29, v31, v30
	v_add_f16_e64 v26, v184, v110
	v_add_f16_e32 v23, v24, v23
	v_add_f16_e32 v24, v84, v25
	v_mul_f16_e64 v197, 0x3b15, v144
	v_mul_f16_e64 v201, 0xb9fd, v144
	v_add_f16_e64 v117, v128, v117
	v_sub_f16_e64 v128, v143, v193
	v_add_f16_e32 v112, v119, v112
	v_add_f16_e64 v118, v190, v138
	v_add_f16_e32 v108, v114, v108
	v_sub_f16_e64 v114, v133, v189
	v_add_f16_e64 v217, v218, v217
	v_mul_f16_e64 v218, 0xbb7b, v156
	v_add_f16_e64 v148, v150, v148
	v_fma_f16 v150, v142, 0x3b15, -v216
	v_add_f16_e64 v151, v221, v151
	v_fmac_f16_e64 v224, 0x3b15, v140
	v_add_f16_e32 v124, v127, v124
	v_fma_f16 v127, v147, 0x388b, -v191
	v_add_f16_e64 v131, v208, v131
	v_fmac_f16_e64 v212, 0xbbc4, v140
	v_fma_f16 v153, 0x2fb7, v147, v158
	v_add_f16_e64 v223, v225, v223
	v_fma_f16 v225, v140, 0xb5ac, -v154
	v_mul_f16_e64 v156, 0x3bf1, v156
	v_add_f16_e64 v146, v152, v146
	v_fmac_f16_e64 v154, 0xb5ac, v140
	v_add_f16_e32 v27, v28, v27
	v_sub_f16_e64 v28, v123, v195
	v_add_f16_e32 v25, v26, v29
	v_add_f16_e64 v26, v194, v116
	v_add_f16_e32 v21, v21, v23
	v_add_f16_e32 v23, v83, v24
	v_add_f16_e64 v117, v128, v117
	v_sub_f16_e64 v128, v145, v204
	v_add_f16_e32 v112, v118, v112
	v_add_f16_e64 v115, v201, v141
	v_add_f16_e32 v108, v114, v108
	v_sub_f16_e64 v105, v129, v198
	v_add_f16_e64 v29, v197, v122
	v_fma_f16 v226, v144, 0xb5ac, -v218
	v_add_f16_e64 v148, v150, v148
	v_fma_f16 v150, v147, 0xb5ac, -v210
	v_add_f16_e64 v120, v224, v151
	v_fmac_f16_e64 v218, 0xb5ac, v144
	v_add_f16_e32 v124, v127, v124
	v_add_f16_e64 v127, v212, v131
	v_fmac_f16_e64 v205, 0x388b, v144
	v_add_f16_e64 v153, v153, v222
	v_add_f16_e64 v155, v225, v223
	v_fma_f16 v222, v144, 0x2fb7, -v156
	v_add_f16_e64 v146, v154, v146
	v_fmac_f16_e64 v156, 0x2fb7, v144
	v_add_f16_e32 v24, v28, v27
	v_add_f16_e32 v25, v26, v25
	v_and_b32_e32 v26, 0xffff, v35
	v_add_f16_e32 v21, v22, v21
	v_add_f16_e32 v22, v82, v23
	v_add_f16_e64 v117, v128, v117
	v_add_f16_e32 v112, v115, v112
	v_add_f16_e32 v23, v105, v108
	;; [unrolled: 1-line block ×3, first 2 shown]
	v_add_f16_e64 v148, v150, v148
	v_add_f16_e64 v120, v218, v120
	;; [unrolled: 1-line block ×6, first 2 shown]
	v_lshl_add_u32 v26, v26, 2, v39
	v_pack_b32_f16 v24, v25, v24
	v_pack_b32_f16 v21, v21, v22
	;; [unrolled: 1-line block ×10, first 2 shown]
	v_perm_b32 v32, v96, v33, 0x5040100
	v_perm_b32 v35, v97, v36, 0x5040100
	;; [unrolled: 1-line block ×3, first 2 shown]
	ds_store_2addr_b32 v26, v21, v24 offset1:1
	ds_store_2addr_b32 v26, v23, v22 offset0:2 offset1:3
	ds_store_2addr_b32 v26, v27, v25 offset0:4 offset1:5
	;; [unrolled: 1-line block ×5, first 2 shown]
	ds_store_b32 v26, v82 offset:48
.LBB0_17:
	s_wait_alu 0xfffe
	s_or_b32 exec_lo, exec_lo, s1
	v_add_nc_u32_e32 v82, 0x400, v41
	v_add_nc_u32_e32 v29, 0x800, v41
	;; [unrolled: 1-line block ×3, first 2 shown]
	global_wb scope:SCOPE_SE
	s_wait_dscnt 0x0
	s_barrier_signal -1
	s_barrier_wait -1
	global_inv scope:SCOPE_SE
	ds_load_2addr_b32 v[21:22], v41 offset1:91
	ds_load_2addr_b32 v[23:24], v82 offset0:108 offset1:199
	v_add_nc_u32_e32 v30, 0xa00, v41
	ds_load_2addr_b32 v[25:26], v29 offset0:34 offset1:125
	ds_load_2addr_b32 v[27:28], v27 offset0:54 offset1:145
	;; [unrolled: 1-line block ×3, first 2 shown]
	global_wb scope:SCOPE_SE
	s_wait_dscnt 0x0
	s_barrier_signal -1
	s_barrier_wait -1
	global_inv scope:SCOPE_SE
	v_lshrrev_b32_e32 v35, 16, v22
	v_lshrrev_b32_e32 v83, 16, v24
	v_mul_f16_e32 v91, v55, v24
	v_lshrrev_b32_e32 v86, 16, v26
	v_lshrrev_b32_e32 v84, 16, v25
	;; [unrolled: 1-line block ×3, first 2 shown]
	v_mul_f16_e32 v55, v55, v83
	v_lshrrev_b32_e32 v90, 16, v31
	v_mul_f16_e32 v92, v57, v25
	v_mul_f16_e32 v93, v58, v26
	;; [unrolled: 1-line block ×6, first 2 shown]
	v_fmac_f16_e32 v55, v46, v24
	v_fma_f16 v84, v48, v84, -v92
	v_fmac_f16_e32 v58, v47, v26
	v_mul_f16_e32 v24, v54, v90
	v_mul_f16_e32 v26, v54, v31
	v_lshrrev_b32_e32 v32, 16, v21
	v_fma_f16 v83, v46, v83, -v91
	v_fmac_f16_e32 v57, v48, v25
	v_lshrrev_b32_e32 v85, 16, v27
	v_fma_f16 v25, v47, v86, -v93
	v_lshrrev_b32_e32 v87, 16, v28
	v_fmac_f16_e32 v56, v45, v30
	v_fma_f16 v30, v45, v88, -v94
	v_sub_f16_e32 v45, v21, v55
	v_lshrrev_b32_e32 v89, 16, v23
	v_fmac_f16_e32 v24, v44, v31
	v_fma_f16 v26, v44, v90, -v26
	v_sub_f16_e32 v47, v35, v84
	v_sub_f16_e32 v44, v32, v83
	;; [unrolled: 1-line block ×5, first 2 shown]
	v_fma_f16 v48, v21, 2.0, -v45
	v_sub_f16_e32 v21, v28, v56
	v_sub_f16_e32 v30, v87, v30
	v_fma_f16 v58, v35, 2.0, -v47
	v_sub_f16_e32 v35, v23, v24
	v_sub_f16_e32 v31, v89, v26
	v_fma_f16 v55, v32, 2.0, -v44
	v_fma_f16 v57, v22, 2.0, -v46
	;; [unrolled: 1-line block ×8, first 2 shown]
	v_pack_b32_f16 v23, v48, v55
	v_pack_b32_f16 v44, v45, v44
	v_pack_b32_f16 v45, v57, v58
	v_pack_b32_f16 v46, v46, v47
	v_pack_b32_f16 v24, v27, v24
	v_pack_b32_f16 v25, v54, v25
	v_pack_b32_f16 v26, v26, v28
	v_pack_b32_f16 v27, v21, v30
	v_pack_b32_f16 v28, v22, v32
	v_pack_b32_f16 v47, v35, v31
	ds_store_2addr_b32 v49, v23, v44 offset1:13
	ds_store_2addr_b32 v50, v45, v46 offset1:13
	;; [unrolled: 1-line block ×5, first 2 shown]
	global_wb scope:SCOPE_SE
	s_wait_dscnt 0x0
	s_barrier_signal -1
	s_barrier_wait -1
	global_inv scope:SCOPE_SE
	ds_load_2addr_b32 v[23:24], v41 offset1:130
	ds_load_2addr_b32 v[27:28], v82 offset0:4 offset1:134
	ds_load_2addr_b32 v[25:26], v29 offset0:8 offset1:138
	ds_load_b32 v44, v41 offset:3120
	s_and_saveexec_b32 s1, s0
	s_cbranch_execz .LBB0_19
; %bb.18:
	ds_load_2addr_b32 v[21:22], v41 offset0:91 offset1:221
	ds_load_2addr_b32 v[35:36], v82 offset0:95 offset1:225
	;; [unrolled: 1-line block ×3, first 2 shown]
	ds_load_b32 v72, v41 offset:3484
	s_wait_dscnt 0x3
	v_lshrrev_b32_e32 v30, 16, v21
	v_lshrrev_b32_e32 v32, 16, v22
	s_wait_dscnt 0x2
	v_lshrrev_b32_e32 v31, 16, v35
	v_lshrrev_b32_e32 v97, 16, v36
	;; [unrolled: 3-line block ×3, first 2 shown]
	s_wait_dscnt 0x0
	v_lshrrev_b32_e32 v73, 16, v72
.LBB0_19:
	s_wait_alu 0xfffe
	s_or_b32 exec_lo, exec_lo, s1
	s_wait_dscnt 0x3
	v_lshrrev_b32_e32 v45, 16, v24
	s_wait_dscnt 0x2
	v_lshrrev_b32_e32 v47, 16, v27
	v_lshrrev_b32_e32 v48, 16, v28
	v_mul_f16_e32 v50, v71, v24
	s_wait_dscnt 0x1
	v_lshrrev_b32_e32 v51, 16, v25
	v_mul_f16_e32 v49, v71, v45
	v_lshrrev_b32_e32 v52, 16, v26
	s_wait_dscnt 0x0
	v_lshrrev_b32_e32 v53, 16, v44
	v_mul_f16_e32 v54, v69, v28
	v_mul_f16_e32 v55, v67, v51
	v_fmac_f16_e32 v49, v4, v24
	v_fma_f16 v4, v4, v45, -v50
	v_mul_f16_e32 v24, v70, v47
	v_mul_f16_e32 v45, v70, v27
	;; [unrolled: 1-line block ×3, first 2 shown]
	v_fmac_f16_e32 v55, v7, v25
	v_mul_f16_e32 v25, v67, v25
	v_fmac_f16_e32 v24, v5, v27
	v_fma_f16 v5, v5, v47, -v45
	v_fmac_f16_e32 v50, v6, v28
	v_mul_f16_e32 v27, v68, v53
	v_mul_f16_e32 v28, v68, v44
	;; [unrolled: 1-line block ×4, first 2 shown]
	v_fma_f16 v6, v6, v48, -v54
	v_fmac_f16_e32 v27, v20, v44
	v_fma_f16 v20, v20, v53, -v28
	v_fmac_f16_e32 v45, v19, v26
	v_fma_f16 v19, v19, v52, -v47
	v_fma_f16 v7, v7, v51, -v25
	v_add_f16_e32 v25, v49, v27
	v_add_f16_e32 v26, v4, v20
	v_sub_f16_e32 v4, v4, v20
	v_add_f16_e32 v20, v24, v45
	v_add_f16_e32 v28, v5, v19
	v_sub_f16_e32 v24, v24, v45
	v_sub_f16_e32 v5, v5, v19
	v_add_f16_e32 v19, v50, v55
	v_add_f16_e32 v44, v6, v7
	v_sub_f16_e32 v45, v55, v50
	;; [unrolled: 4-line block ×3, first 2 shown]
	v_lshrrev_b32_e32 v46, 16, v23
	v_sub_f16_e32 v48, v20, v25
	v_sub_f16_e32 v49, v28, v26
	v_sub_f16_e32 v25, v25, v19
	v_sub_f16_e32 v26, v26, v44
	v_sub_f16_e32 v20, v19, v20
	v_sub_f16_e32 v28, v44, v28
	v_add_f16_e32 v50, v45, v24
	v_add_f16_e32 v51, v6, v5
	v_sub_f16_e32 v52, v45, v24
	v_sub_f16_e32 v53, v6, v5
	v_add_f16_e32 v7, v19, v7
	v_add_f16_e32 v19, v44, v47
	v_sub_f16_e32 v24, v24, v27
	v_sub_f16_e32 v5, v5, v4
	;; [unrolled: 1-line block ×4, first 2 shown]
	v_add_f16_e32 v27, v50, v27
	v_add_f16_e32 v4, v51, v4
	;; [unrolled: 1-line block ×4, first 2 shown]
	v_mul_f16_e32 v25, 0x3a52, v25
	v_mul_f16_e32 v26, 0x3a52, v26
	;; [unrolled: 1-line block ×8, first 2 shown]
	v_fmamk_f16 v7, v7, 0xbcab, v23
	v_fmamk_f16 v19, v19, 0xbcab, v44
	;; [unrolled: 1-line block ×4, first 2 shown]
	v_fma_f16 v46, v48, 0x39e0, -v46
	v_fma_f16 v47, v49, 0x39e0, -v47
	;; [unrolled: 1-line block ×4, first 2 shown]
	v_fmamk_f16 v48, v45, 0xb574, v50
	v_fmamk_f16 v49, v6, 0xb574, v51
	v_fma_f16 v24, v24, 0xbb00, -v50
	v_fma_f16 v5, v5, 0xbb00, -v51
	;; [unrolled: 1-line block ×4, first 2 shown]
	v_add_f16_e32 v20, v20, v7
	v_add_f16_e32 v28, v28, v19
	v_fmac_f16_e32 v48, 0xb70e, v27
	v_fmac_f16_e32 v49, 0xb70e, v4
	v_add_f16_e32 v46, v46, v7
	v_add_f16_e32 v47, v47, v19
	;; [unrolled: 1-line block ×4, first 2 shown]
	v_fmac_f16_e32 v24, 0xb70e, v27
	v_fmac_f16_e32 v6, 0xb70e, v4
	;; [unrolled: 1-line block ×4, first 2 shown]
	v_add_f16_e32 v4, v49, v20
	v_sub_f16_e32 v25, v28, v48
	v_add_f16_e32 v26, v6, v7
	v_sub_f16_e32 v27, v19, v45
	v_sub_f16_e32 v50, v46, v5
	v_add_f16_e32 v51, v24, v47
	v_add_f16_e32 v5, v5, v46
	v_sub_f16_e32 v24, v47, v24
	v_sub_f16_e32 v6, v7, v6
	v_add_f16_e32 v7, v45, v19
	v_sub_f16_e32 v19, v20, v49
	v_add_f16_e32 v20, v48, v28
	v_add_nc_u32_e32 v29, 0x16c, v40
	v_pack_b32_f16 v23, v23, v44
	v_pack_b32_f16 v4, v4, v25
	;; [unrolled: 1-line block ×7, first 2 shown]
	global_wb scope:SCOPE_SE
	s_barrier_signal -1
	s_barrier_wait -1
	global_inv scope:SCOPE_SE
	ds_store_2addr_b32 v65, v23, v4 offset1:26
	ds_store_2addr_b32 v65, v25, v26 offset0:52 offset1:78
	ds_store_2addr_b32 v65, v5, v6 offset0:104 offset1:130
	ds_store_b32 v65, v7 offset:624
	s_and_saveexec_b32 s1, s0
	s_cbranch_execz .LBB0_21
; %bb.20:
	v_mul_f16_e32 v4, v63, v32
	v_mul_f16_e32 v5, v64, v73
	;; [unrolled: 1-line block ×5, first 2 shown]
	v_fmac_f16_e32 v4, v0, v22
	v_fmac_f16_e32 v5, v18, v72
	v_mul_f16_e32 v22, v63, v22
	v_fma_f16 v18, v18, v73, -v24
	v_mul_f16_e32 v24, v62, v34
	v_mul_f16_e32 v26, v61, v35
	;; [unrolled: 1-line block ×4, first 2 shown]
	v_fmac_f16_e32 v19, v1, v35
	v_fmac_f16_e32 v20, v17, v34
	v_fma_f16 v0, v0, v32, -v22
	v_mul_f16_e32 v22, v59, v36
	v_mul_f16_e32 v27, v60, v33
	v_fma_f16 v17, v17, v98, -v24
	v_fma_f16 v1, v1, v31, -v26
	v_fmac_f16_e32 v6, v3, v33
	v_fmac_f16_e32 v7, v2, v36
	v_fma_f16 v2, v2, v97, -v22
	v_fma_f16 v3, v3, v96, -v27
	v_add_f16_e32 v22, v18, v0
	v_add_f16_e32 v26, v17, v1
	v_sub_f16_e32 v23, v4, v5
	v_sub_f16_e32 v25, v6, v7
	;; [unrolled: 1-line block ×3, first 2 shown]
	v_add_f16_e32 v28, v2, v3
	v_add_f16_e32 v32, v26, v22
	;; [unrolled: 1-line block ×3, first 2 shown]
	v_sub_f16_e32 v31, v23, v25
	v_sub_f16_e32 v27, v25, v24
	v_add_f16_e32 v25, v25, v24
	v_add_f16_e32 v32, v28, v32
	;; [unrolled: 1-line block ×4, first 2 shown]
	v_sub_f16_e32 v2, v3, v2
	v_add_f16_e32 v19, v25, v23
	v_add_f16_e32 v30, v30, v32
	;; [unrolled: 1-line block ×3, first 2 shown]
	v_sub_f16_e32 v1, v1, v17
	v_sub_f16_e32 v0, v0, v18
	;; [unrolled: 1-line block ×3, first 2 shown]
	v_fmamk_f16 v7, v32, 0xbcab, v30
	v_sub_f16_e32 v32, v4, v6
	v_add_f16_e32 v25, v6, v25
	v_sub_f16_e32 v18, v2, v1
	v_sub_f16_e32 v35, v0, v2
	v_add_f16_e32 v2, v2, v1
	v_mul_f16_e32 v33, 0x3a52, v33
	v_sub_f16_e32 v28, v28, v26
	v_mul_f16_e32 v3, 0x3a52, v32
	v_sub_f16_e32 v6, v6, v5
	v_add_f16_e32 v17, v21, v25
	v_sub_f16_e32 v23, v24, v23
	v_add_f16_e32 v2, v2, v0
	v_sub_f16_e32 v0, v1, v0
	v_mul_f16_e32 v27, 0x3846, v27
	v_fmamk_f16 v20, v28, 0x2b26, v33
	v_mul_f16_e32 v28, 0x2b26, v28
	v_fmamk_f16 v32, v6, 0x2b26, v3
	v_fmamk_f16 v25, v25, 0xbcab, v17
	v_mul_f16_e32 v18, 0x3846, v18
	v_mul_f16_e32 v6, 0x2b26, v6
	v_sub_f16_e32 v1, v26, v22
	v_sub_f16_e32 v4, v5, v4
	v_mul_f16_e32 v36, 0xbb00, v23
	v_mul_f16_e32 v22, 0xbb00, v0
	v_fmamk_f16 v34, v31, 0xb574, v27
	v_add_f16_e32 v24, v32, v25
	v_fmamk_f16 v32, v35, 0xb574, v18
	v_fma_f16 v26, v1, 0xb9e0, -v33
	v_fma_f16 v3, v4, 0xb9e0, -v3
	;; [unrolled: 1-line block ×5, first 2 shown]
	v_and_b32_e32 v6, 0xffff, v43
	v_fma_f16 v5, v31, 0x3574, -v36
	v_fma_f16 v22, v35, 0x3574, -v22
	;; [unrolled: 1-line block ×3, first 2 shown]
	v_fmac_f16_e32 v34, 0xb70e, v19
	v_add_f16_e32 v20, v20, v7
	v_fmac_f16_e32 v32, 0xb70e, v2
	v_add_f16_e32 v1, v1, v7
	v_fmac_f16_e32 v23, 0xb70e, v19
	v_mul_u32_u24_e32 v6, 0xb6, v6
	v_fmac_f16_e32 v5, 0xb70e, v19
	v_add_f16_e32 v26, v26, v7
	v_add_f16_e32 v3, v3, v25
	v_fmac_f16_e32 v22, 0xb70e, v2
	v_fmac_f16_e32 v0, 0xb70e, v2
	v_add_f16_e32 v2, v4, v25
	v_add_f16_e32 v21, v34, v20
	v_sub_f16_e32 v18, v1, v23
	v_add_f16_e32 v1, v23, v1
	v_add_nc_u32_e32 v6, v6, v42
	v_sub_f16_e32 v20, v20, v34
	v_add_f16_e32 v23, v32, v24
	v_add_f16_e32 v4, v5, v26
	v_sub_f16_e32 v7, v3, v22
	v_add_f16_e32 v19, v0, v2
	v_sub_f16_e32 v5, v26, v5
	;; [unrolled: 2-line block ×3, first 2 shown]
	v_sub_f16_e32 v31, v24, v32
	v_lshl_add_u32 v2, v6, 2, v39
	v_pack_b32_f16 v6, v17, v30
	v_pack_b32_f16 v17, v23, v20
	;; [unrolled: 1-line block ×7, first 2 shown]
	ds_store_2addr_b32 v2, v6, v17 offset1:26
	ds_store_2addr_b32 v2, v3, v0 offset0:52 offset1:78
	ds_store_2addr_b32 v2, v1, v4 offset0:104 offset1:130
	ds_store_b32 v2, v5 offset:624
.LBB0_21:
	s_wait_alu 0xfffe
	s_or_b32 exec_lo, exec_lo, s1
	v_add_nc_u32_e32 v2, 0x200, v41
	v_add_nc_u32_e32 v4, 0x400, v41
	;; [unrolled: 1-line block ×4, first 2 shown]
	global_wb scope:SCOPE_SE
	s_wait_dscnt 0x0
	s_barrier_signal -1
	s_barrier_wait -1
	global_inv scope:SCOPE_SE
	ds_load_2addr_b32 v[0:1], v41 offset1:91
	ds_load_2addr_b32 v[2:3], v2 offset0:54 offset1:145
	ds_load_2addr_b32 v[4:5], v4 offset0:108 offset1:199
	ds_load_2addr_b32 v[6:7], v6 offset0:34 offset1:125
	ds_load_2addr_b32 v[17:18], v17 offset0:88 offset1:179
	s_wait_dscnt 0x3
	v_lshrrev_b32_e32 v21, 16, v2
	s_wait_dscnt 0x2
	v_lshrrev_b32_e32 v22, 16, v4
	;; [unrolled: 2-line block ×3, first 2 shown]
	v_mul_f16_e32 v28, v80, v2
	v_mul_f16_e32 v31, v81, v4
	s_wait_dscnt 0x0
	v_lshrrev_b32_e32 v24, 16, v17
	v_lshrrev_b32_e32 v25, 16, v3
	v_mul_f16_e32 v33, v80, v21
	v_fma_f16 v21, v12, v21, -v28
	v_mul_f16_e32 v28, v81, v22
	v_fma_f16 v22, v13, v22, -v31
	v_mul_f16_e32 v31, v79, v23
	v_lshrrev_b32_e32 v26, 16, v5
	v_mul_f16_e32 v32, v79, v6
	v_mul_f16_e32 v34, v76, v24
	v_fmac_f16_e32 v33, v12, v2
	v_fmac_f16_e32 v28, v13, v4
	;; [unrolled: 1-line block ×3, first 2 shown]
	v_mul_f16_e32 v2, v76, v17
	v_mul_f16_e32 v4, v78, v25
	;; [unrolled: 1-line block ×3, first 2 shown]
	v_lshrrev_b32_e32 v27, 16, v7
	v_lshrrev_b32_e32 v30, 16, v18
	v_fmac_f16_e32 v34, v15, v17
	v_mul_f16_e32 v12, v77, v26
	v_mul_f16_e32 v13, v77, v5
	v_fma_f16 v2, v15, v24, -v2
	v_fmac_f16_e32 v4, v8, v3
	v_fma_f16 v3, v8, v25, -v6
	v_add_f16_e32 v6, v28, v31
	v_lshrrev_b32_e32 v19, 16, v0
	v_fma_f16 v23, v14, v23, -v32
	v_fmac_f16_e32 v12, v9, v5
	v_fma_f16 v5, v9, v26, -v13
	v_mul_f16_e32 v8, v75, v27
	v_mul_f16_e32 v9, v75, v7
	;; [unrolled: 1-line block ×3, first 2 shown]
	v_add_f16_e32 v14, v0, v33
	v_fma_f16 v6, -0.5, v6, v0
	v_sub_f16_e32 v15, v21, v2
	v_add_f16_e32 v25, v33, v34
	v_fmac_f16_e32 v8, v10, v7
	v_fma_f16 v7, v10, v27, -v9
	v_fmac_f16_e32 v13, v11, v18
	v_add_f16_e32 v9, v14, v28
	v_fmamk_f16 v10, v15, 0xbb9c, v6
	v_sub_f16_e32 v14, v22, v23
	v_sub_f16_e32 v17, v33, v28
	;; [unrolled: 1-line block ×3, first 2 shown]
	v_mul_f16_e32 v18, v74, v18
	v_fma_f16 v0, -0.5, v25, v0
	v_fmac_f16_e32 v6, 0x3b9c, v15
	v_add_f16_e32 v26, v19, v21
	v_fmac_f16_e32 v10, 0xb8b4, v14
	v_add_f16_e32 v17, v17, v24
	v_fma_f16 v11, v11, v30, -v18
	v_fmamk_f16 v18, v14, 0x3b9c, v0
	v_sub_f16_e32 v24, v28, v33
	v_sub_f16_e32 v25, v31, v34
	v_fmac_f16_e32 v6, 0x38b4, v14
	v_add_f16_e32 v27, v22, v23
	v_fmac_f16_e32 v0, 0xbb9c, v14
	v_add_f16_e32 v14, v26, v22
	;; [unrolled: 2-line block ×3, first 2 shown]
	v_fma_f16 v25, -0.5, v27, v19
	v_sub_f16_e32 v26, v33, v34
	v_fmac_f16_e32 v6, 0x34f2, v17
	v_add_f16_e32 v14, v14, v23
	v_add_f16_e32 v17, v21, v2
	v_fmac_f16_e32 v18, 0xb8b4, v15
	v_fmac_f16_e32 v0, 0x38b4, v15
	v_fmamk_f16 v15, v26, 0x3b9c, v25
	v_sub_f16_e32 v27, v28, v31
	v_sub_f16_e32 v28, v21, v22
	;; [unrolled: 1-line block ×3, first 2 shown]
	v_fmac_f16_e32 v19, -0.5, v17
	v_add_f16_e32 v14, v14, v2
	v_fmac_f16_e32 v25, 0xbb9c, v26
	v_sub_f16_e32 v21, v22, v21
	v_sub_f16_e32 v2, v23, v2
	v_add_f16_e32 v22, v12, v8
	v_fmac_f16_e32 v18, 0x34f2, v24
	v_fmac_f16_e32 v0, 0x34f2, v24
	;; [unrolled: 1-line block ×3, first 2 shown]
	v_add_f16_e32 v17, v28, v30
	v_fmamk_f16 v24, v27, 0xbb9c, v19
	v_fmac_f16_e32 v25, 0xb8b4, v27
	v_add_f16_e32 v2, v21, v2
	v_fmac_f16_e32 v19, 0x3b9c, v27
	v_add_f16_e32 v21, v1, v4
	v_fma_f16 v22, -0.5, v22, v1
	v_sub_f16_e32 v23, v3, v11
	v_fmac_f16_e32 v15, 0x34f2, v17
	v_fmac_f16_e32 v24, 0x38b4, v26
	;; [unrolled: 1-line block ×4, first 2 shown]
	v_add_f16_e32 v17, v21, v12
	v_fmamk_f16 v21, v23, 0xbb9c, v22
	v_sub_f16_e32 v26, v5, v7
	v_sub_f16_e32 v27, v4, v12
	;; [unrolled: 1-line block ×3, first 2 shown]
	v_fmac_f16_e32 v22, 0x3b9c, v23
	v_add_f16_e32 v30, v4, v13
	v_lshrrev_b32_e32 v20, 16, v1
	v_add_f16_e32 v17, v17, v8
	v_fmac_f16_e32 v21, 0xb8b4, v26
	v_add_f16_e32 v27, v27, v28
	v_fmac_f16_e32 v22, 0x38b4, v26
	v_fmac_f16_e32 v1, -0.5, v30
	v_sub_f16_e32 v28, v12, v4
	v_sub_f16_e32 v30, v8, v13
	v_fmac_f16_e32 v24, 0x34f2, v2
	v_fmac_f16_e32 v19, 0x34f2, v2
	v_add_f16_e32 v2, v17, v13
	v_fmac_f16_e32 v21, 0x34f2, v27
	v_fmac_f16_e32 v22, 0x34f2, v27
	v_fmamk_f16 v17, v26, 0x3b9c, v1
	v_add_f16_e32 v27, v5, v7
	v_fmac_f16_e32 v1, 0xbb9c, v26
	v_add_f16_e32 v26, v20, v3
	v_sub_f16_e32 v4, v4, v13
	v_add_f16_e32 v13, v28, v30
	v_add_f16_e32 v28, v3, v11
	v_fma_f16 v27, -0.5, v27, v20
	v_fmac_f16_e32 v17, 0xb8b4, v23
	v_fmac_f16_e32 v1, 0x38b4, v23
	v_add_f16_e32 v23, v26, v5
	v_sub_f16_e32 v8, v12, v8
	v_fmac_f16_e32 v20, -0.5, v28
	v_fmamk_f16 v26, v4, 0x3b9c, v27
	v_fmac_f16_e32 v17, 0x34f2, v13
	v_fmac_f16_e32 v1, 0x34f2, v13
	v_add_f16_e32 v12, v23, v7
	v_sub_f16_e32 v13, v3, v5
	v_sub_f16_e32 v23, v11, v7
	v_fmamk_f16 v28, v8, 0xbb9c, v20
	v_sub_f16_e32 v3, v5, v3
	v_sub_f16_e32 v5, v7, v11
	v_add_f16_e32 v9, v9, v31
	v_fmac_f16_e32 v27, 0xbb9c, v4
	v_fmac_f16_e32 v20, 0x3b9c, v8
	;; [unrolled: 1-line block ×3, first 2 shown]
	v_add_f16_e32 v7, v13, v23
	v_fmac_f16_e32 v28, 0x38b4, v4
	v_add_f16_e32 v3, v3, v5
	v_add_f16_e32 v9, v9, v34
	v_fmac_f16_e32 v27, 0xb8b4, v8
	v_fmac_f16_e32 v20, 0xb8b4, v4
	v_add_f16_e32 v4, v12, v11
	v_fmac_f16_e32 v26, 0x34f2, v7
	v_fmac_f16_e32 v28, 0x34f2, v3
	;; [unrolled: 1-line block ×4, first 2 shown]
	v_pack_b32_f16 v3, v9, v14
	v_pack_b32_f16 v7, v18, v24
	v_pack_b32_f16 v0, v0, v19
	v_add_nc_u32_e32 v8, 0x500, v40
	v_pack_b32_f16 v6, v6, v25
	v_pack_b32_f16 v5, v10, v15
	;; [unrolled: 1-line block ×5, first 2 shown]
	v_add_nc_u32_e32 v10, 0x200, v29
	v_pack_b32_f16 v1, v1, v20
	v_pack_b32_f16 v11, v22, v27
	v_add_nc_u32_e32 v12, 0x800, v29
	ds_store_b32 v40, v3
	ds_store_2addr_b32 v8, v7, v0 offset0:44 offset1:226
	ds_store_b32 v40, v6 offset:2912
	ds_store_2addr_b32 v40, v2, v5 offset0:91 offset1:182
	ds_store_2addr_b32 v10, v4, v9 offset0:54 offset1:236
	;; [unrolled: 1-line block ×3, first 2 shown]
	global_wb scope:SCOPE_SE
	s_wait_dscnt 0x0
	s_barrier_signal -1
	s_barrier_wait -1
	global_inv scope:SCOPE_SE
	s_and_b32 exec_lo, exec_lo, vcc_lo
	s_cbranch_execz .LBB0_23
; %bb.22:
	s_clause 0x6
	global_load_b32 v0, v37, s[20:21]
	global_load_b32 v1, v37, s[20:21] offset:280
	global_load_b32 v7, v37, s[20:21] offset:560
	;; [unrolled: 1-line block ×6, first 2 shown]
	v_mad_co_u64_u32 v[8:9], null, s4, v38, 0
	ds_load_2addr_b32 v[5:6], v40 offset0:70 offset1:140
	ds_load_b32 v17, v40
	v_add_nc_u32_e32 v4, 0x200, v40
	v_add_nc_u32_e32 v12, 0x400, v40
	v_mad_co_u64_u32 v[2:3], null, s6, v16, 0
	ds_load_2addr_b32 v[10:11], v4 offset0:82 offset1:152
	ds_load_2addr_b32 v[12:13], v12 offset0:94 offset1:164
	v_mov_b32_e32 v4, v9
	s_mov_b32 s24, 0x12012012
	s_mov_b32 s25, 0x3f520120
	s_mul_u64 s[22:23], s[4:5], 0x118
	s_delay_alu instid0(VALU_DEP_1) | instskip(SKIP_4) | instid1(VALU_DEP_3)
	v_mad_co_u64_u32 v[14:15], null, s7, v16, v[3:4]
	s_wait_dscnt 0x3
	v_mad_co_u64_u32 v[15:16], null, s5, v38, v[4:5]
	s_wait_dscnt 0x2
	v_lshrrev_b32_e32 v16, 16, v17
	v_mov_b32_e32 v3, v14
	v_lshrrev_b32_e32 v18, 16, v5
	v_lshrrev_b32_e32 v19, 16, v6
	s_wait_dscnt 0x1
	v_lshrrev_b32_e32 v25, 16, v10
	v_lshrrev_b32_e32 v26, 16, v11
	v_mov_b32_e32 v9, v15
	s_wait_dscnt 0x0
	v_lshrrev_b32_e32 v27, 16, v12
	v_lshrrev_b32_e32 v45, 16, v13
	v_lshlrev_b64_e32 v[2:3], 2, v[2:3]
	global_load_b32 v4, v37, s[20:21] offset:1960
	v_add_co_u32 v2, vcc_lo, s8, v2
	s_wait_alu 0xfffd
	v_add_co_ci_u32_e32 v3, vcc_lo, s9, v3, vcc_lo
	s_wait_loadcnt 0x7
	v_lshrrev_b32_e32 v14, 16, v0
	s_wait_loadcnt 0x6
	v_lshrrev_b32_e32 v15, 16, v1
	;; [unrolled: 2-line block ×5, first 2 shown]
	v_mul_f16_e32 v30, v16, v14
	v_mul_f16_e32 v14, v17, v14
	;; [unrolled: 1-line block ×5, first 2 shown]
	v_fmac_f16_e32 v30, v17, v0
	v_fma_f16 v0, v0, v16, -v14
	v_fmac_f16_e32 v31, v5, v1
	v_fma_f16 v15, v1, v18, -v15
	v_mul_f16_e32 v20, v6, v20
	v_cvt_f32_f16_e32 v14, v30
	v_cvt_f32_f16_e32 v16, v0
	;; [unrolled: 1-line block ×3, first 2 shown]
	v_fmac_f16_e32 v32, v6, v7
	v_cvt_f32_f16_e32 v6, v15
	v_cvt_f64_f32_e32 v[0:1], v14
	v_cvt_f64_f32_e32 v[14:15], v16
	;; [unrolled: 1-line block ×3, first 2 shown]
	v_mul_f16_e32 v33, v25, v21
	v_fma_f16 v7, v7, v19, -v20
	v_cvt_f32_f16_e32 v20, v32
	v_cvt_f64_f32_e32 v[18:19], v6
	s_wait_loadcnt 0x2
	v_lshrrev_b32_e32 v29, 16, v24
	v_mul_f16_e32 v5, v10, v21
	v_mul_f16_e32 v30, v26, v28
	v_fmac_f16_e32 v33, v10, v22
	v_cvt_f32_f16_e32 v7, v7
	v_cvt_f64_f32_e32 v[20:21], v20
	v_mul_f16_e32 v6, v12, v29
	v_mul_f16_e32 v28, v11, v28
	v_cvt_f32_f16_e32 v32, v33
	v_fma_f16 v5, v22, v25, -v5
	v_fmac_f16_e32 v30, v11, v23
	v_cvt_f64_f32_e32 v[10:11], v7
	v_fma_f16 v6, v24, v27, -v6
	s_wait_loadcnt 0x1
	v_lshrrev_b32_e32 v46, 16, v36
	v_mul_f16_e32 v31, v27, v29
	v_fma_f16 v26, v23, v26, -v28
	v_cvt_f64_f32_e32 v[22:23], v32
	v_cvt_f32_f16_e32 v5, v5
	v_cvt_f32_f16_e32 v6, v6
	v_mul_f16_e32 v29, v45, v46
	v_fmac_f16_e32 v31, v12, v24
	v_cvt_f32_f16_e32 v7, v30
	v_cvt_f64_f32_e32 v[24:25], v5
	v_cvt_f64_f32_e32 v[32:33], v6
	v_fmac_f16_e32 v29, v13, v36
	v_cvt_f32_f16_e32 v5, v26
	v_cvt_f64_f32_e32 v[26:27], v7
	v_cvt_f32_f16_e32 v12, v31
	s_delay_alu instid0(VALU_DEP_4) | instskip(NEXT) | instid1(VALU_DEP_4)
	v_cvt_f32_f16_e32 v34, v29
	v_cvt_f64_f32_e32 v[28:29], v5
	v_mul_f64_e32 v[38:39], s[24:25], v[0:1]
	v_lshlrev_b64_e32 v[0:1], 2, v[8:9]
	v_mul_f64_e32 v[8:9], s[24:25], v[14:15]
	v_mul_f64_e32 v[14:15], s[24:25], v[16:17]
	v_cvt_f64_f32_e32 v[30:31], v12
	v_cvt_f64_f32_e32 v[34:35], v34
	v_mul_f64_e32 v[16:17], s[24:25], v[18:19]
	v_add_co_u32 v18, vcc_lo, v2, v0
	s_wait_alu 0xfffd
	v_add_co_ci_u32_e32 v19, vcc_lo, v3, v1, vcc_lo
	v_mul_f16_e32 v0, v13, v46
	v_mul_f64_e32 v[20:21], s[24:25], v[20:21]
	v_add_co_u32 v41, vcc_lo, v18, s22
	s_wait_alu 0xfffd
	v_add_co_ci_u32_e32 v42, vcc_lo, s23, v19, vcc_lo
	v_fma_f16 v36, v36, v45, -v0
	v_mul_f64_e32 v[10:11], s[24:25], v[10:11]
	v_add_co_u32 v43, vcc_lo, v41, s22
	s_wait_alu 0xfffd
	v_add_co_ci_u32_e32 v44, vcc_lo, s23, v42, vcc_lo
	v_mul_f64_e32 v[22:23], s[24:25], v[22:23]
	s_clause 0x2
	global_load_b32 v5, v37, s[20:21] offset:2240
	global_load_b32 v6, v37, s[20:21] offset:2520
	;; [unrolled: 1-line block ×3, first 2 shown]
	v_mul_f64_e32 v[12:13], s[24:25], v[24:25]
	v_mul_f64_e32 v[2:3], s[24:25], v[32:33]
	v_add_co_u32 v24, vcc_lo, v43, s22
	v_mul_f64_e32 v[26:27], s[24:25], v[26:27]
	s_wait_alu 0xfffd
	v_add_co_ci_u32_e32 v25, vcc_lo, s23, v44, vcc_lo
	v_mul_f64_e32 v[28:29], s[24:25], v[28:29]
	v_and_or_b32 v32, 0x1ff, v39, v38
	v_lshrrev_b32_e32 v33, 8, v39
	v_and_or_b32 v8, 0x1ff, v9, v8
	v_and_or_b32 v14, 0x1ff, v15, v14
	v_mul_f64_e32 v[30:31], s[24:25], v[30:31]
	v_cmp_ne_u32_e32 vcc_lo, 0, v32
	v_and_or_b32 v16, 0x1ff, v17, v16
	v_mul_f64_e32 v[0:1], s[24:25], v[34:35]
	v_bfe_u32 v34, v39, 20, 11
	v_lshrrev_b32_e32 v35, 16, v39
	s_wait_alu 0xfffd
	v_cndmask_b32_e64 v32, 0, 1, vcc_lo
	v_cmp_ne_u32_e32 vcc_lo, 0, v8
	v_and_or_b32 v20, 0x1ff, v21, v20
	v_lshrrev_b32_e32 v38, 8, v9
	v_bfe_u32 v39, v9, 20, 11
	v_and_or_b32 v32, 0xffe, v33, v32
	s_wait_alu 0xfffd
	v_cndmask_b32_e64 v8, 0, 1, vcc_lo
	v_cmp_ne_u32_e32 vcc_lo, 0, v14
	v_and_or_b32 v10, 0x1ff, v11, v10
	v_lshrrev_b32_e32 v45, 8, v15
	v_bfe_u32 v46, v15, 20, 11
	v_bfe_u32 v48, v17, 20, 11
	s_wait_alu 0xfffd
	v_cndmask_b32_e64 v14, 0, 1, vcc_lo
	v_cmp_ne_u32_e32 vcc_lo, 0, v16
	v_and_or_b32 v22, 0x1ff, v23, v22
	v_sub_nc_u32_e32 v63, 0x3f1, v34
	v_add_nc_u32_e32 v34, 0xfffffc10, v34
	v_sub_nc_u32_e32 v64, 0x3f1, v39
	s_wait_alu 0xfffd
	v_cndmask_b32_e64 v16, 0, 1, vcc_lo
	v_cmp_ne_u32_e32 vcc_lo, 0, v20
	v_and_or_b32 v12, 0x1ff, v13, v12
	v_and_or_b32 v8, 0xffe, v38, v8
	v_lshrrev_b32_e32 v47, 8, v17
	v_and_or_b32 v26, 0x1ff, v27, v26
	s_wait_alu 0xfffd
	v_cndmask_b32_e64 v20, 0, 1, vcc_lo
	v_cmp_ne_u32_e32 vcc_lo, 0, v10
	v_bfe_u32 v50, v21, 20, 11
	v_and_or_b32 v28, 0x1ff, v29, v28
	v_bfe_u32 v52, v11, 20, 11
	v_add_nc_u32_e32 v39, 0xfffffc10, v39
	s_wait_alu 0xfffd
	v_cndmask_b32_e64 v10, 0, 1, vcc_lo
	v_cmp_ne_u32_e32 vcc_lo, 0, v22
	v_and_or_b32 v30, 0x1ff, v31, v30
	v_sub_nc_u32_e32 v65, 0x3f1, v46
	v_sub_nc_u32_e32 v66, 0x3f1, v48
	v_med3_i32 v33, v63, 0, 13
	s_wait_alu 0xfffd
	v_cndmask_b32_e64 v22, 0, 1, vcc_lo
	v_cmp_ne_u32_e32 vcc_lo, 0, v12
	v_med3_i32 v38, v64, 0, 13
	v_and_or_b32 v14, 0xffe, v45, v14
	v_or_b32_e32 v63, 0x1000, v32
	v_lshl_or_b32 v64, v34, 12, v32
	s_wait_alu 0xfffd
	v_cndmask_b32_e64 v12, 0, 1, vcc_lo
	v_cmp_ne_u32_e32 vcc_lo, 0, v26
	v_lshrrev_b32_e32 v49, 8, v21
	v_lshrrev_b32_e32 v51, 8, v11
	v_bfe_u32 v54, v23, 20, 11
	v_bfe_u32 v56, v13, 20, 11
	s_wait_alu 0xfffd
	v_cndmask_b32_e64 v26, 0, 1, vcc_lo
	v_cmp_ne_u32_e32 vcc_lo, 0, v28
	v_add_nc_u32_e32 v46, 0xfffffc10, v46
	v_sub_nc_u32_e32 v67, 0x3f1, v50
	v_sub_nc_u32_e32 v68, 0x3f1, v52
	v_med3_i32 v45, v65, 0, 13
	s_wait_alu 0xfffd
	v_cndmask_b32_e64 v28, 0, 1, vcc_lo
	v_cmp_ne_u32_e32 vcc_lo, 0, v30
	v_and_or_b32 v16, 0xffe, v47, v16
	v_med3_i32 v47, v66, 0, 13
	v_or_b32_e32 v65, 0x1000, v8
	v_lshl_or_b32 v66, v39, 12, v8
	s_wait_alu 0xfffd
	v_cndmask_b32_e64 v30, 0, 1, vcc_lo
	v_cmp_ne_u32_e32 vcc_lo, 0, v32
	v_lshrrev_b32_e32 v53, 8, v23
	v_lshrrev_b32_e32 v55, 8, v13
	v_bfe_u32 v58, v27, 20, 11
	v_bfe_u32 v60, v29, 20, 11
	s_wait_alu 0xfffd
	v_cndmask_b32_e64 v32, 0, 1, vcc_lo
	v_cmp_ne_u32_e32 vcc_lo, 0, v8
	v_add_nc_u32_e32 v48, 0xfffffc10, v48
	v_sub_nc_u32_e32 v69, 0x3f1, v54
	v_sub_nc_u32_e32 v70, 0x3f1, v56
	v_and_or_b32 v20, 0xffe, v49, v20
	s_wait_alu 0xfffd
	v_cndmask_b32_e64 v8, 0, 1, vcc_lo
	v_cmp_ne_u32_e32 vcc_lo, 0, v14
	v_med3_i32 v49, v67, 0, 13
	v_and_or_b32 v10, 0xffe, v51, v10
	v_med3_i32 v51, v68, 0, 13
	v_or_b32_e32 v67, 0x1000, v14
	v_lshl_or_b32 v68, v46, 12, v14
	s_wait_alu 0xfffd
	v_cndmask_b32_e64 v14, 0, 1, vcc_lo
	v_cmp_ne_u32_e32 vcc_lo, 0, v16
	v_lshrrev_b32_e32 v57, 8, v27
	v_lshrrev_b32_e32 v59, 8, v29
	v_bfe_u32 v62, v31, 20, 11
	v_add_nc_u32_e32 v50, 0xfffffc10, v50
	v_sub_nc_u32_e32 v71, 0x3f1, v58
	v_sub_nc_u32_e32 v72, 0x3f1, v60
	v_and_or_b32 v22, 0xffe, v53, v22
	v_med3_i32 v53, v69, 0, 13
	v_and_or_b32 v12, 0xffe, v55, v12
	v_med3_i32 v55, v70, 0, 13
	v_or_b32_e32 v69, 0x1000, v16
	v_lshl_or_b32 v70, v48, 12, v16
	s_wait_alu 0xfffd
	v_cndmask_b32_e64 v16, 0, 1, vcc_lo
	v_cmp_ne_u32_e32 vcc_lo, 0, v20
	v_lshrrev_b32_e32 v61, 8, v31
	v_add_nc_u32_e32 v52, 0xfffffc10, v52
	v_sub_nc_u32_e32 v73, 0x3f1, v62
	v_and_or_b32 v26, 0xffe, v57, v26
	v_med3_i32 v57, v71, 0, 13
	v_and_or_b32 v28, 0xffe, v59, v28
	v_med3_i32 v59, v72, 0, 13
	v_or_b32_e32 v71, 0x1000, v20
	v_lshl_or_b32 v72, v50, 12, v20
	s_wait_alu 0xfffd
	v_cndmask_b32_e64 v20, 0, 1, vcc_lo
	v_cmp_ne_u32_e32 vcc_lo, 0, v10
	v_add_nc_u32_e32 v54, 0xfffffc10, v54
	v_and_or_b32 v30, 0xffe, v61, v30
	v_med3_i32 v61, v73, 0, 13
	v_or_b32_e32 v73, 0x1000, v10
	v_lshl_or_b32 v74, v52, 12, v10
	s_wait_alu 0xfffd
	v_cndmask_b32_e64 v10, 0, 1, vcc_lo
	v_cmp_ne_u32_e32 vcc_lo, 0, v22
	v_add_nc_u32_e32 v56, 0xfffffc10, v56
	v_or_b32_e32 v75, 0x1000, v22
	v_lshl_or_b32 v76, v54, 12, v22
	v_add_nc_u32_e32 v58, 0xfffffc10, v58
	s_wait_alu 0xfffd
	v_cndmask_b32_e64 v22, 0, 1, vcc_lo
	v_cmp_ne_u32_e32 vcc_lo, 0, v12
	v_or_b32_e32 v77, 0x1000, v12
	v_lshl_or_b32 v78, v56, 12, v12
	v_lshrrev_b32_e32 v85, v33, v63
	v_add_nc_u32_e32 v60, 0xfffffc10, v60
	s_wait_alu 0xfffd
	v_cndmask_b32_e64 v12, 0, 1, vcc_lo
	v_cmp_ne_u32_e32 vcc_lo, 0, v26
	v_or_b32_e32 v79, 0x1000, v26
	v_lshl_or_b32 v80, v58, 12, v26
	v_lshrrev_b32_e32 v86, v38, v65
	v_lshlrev_b32_e32 v33, v33, v85
	s_wait_alu 0xfffd
	v_cndmask_b32_e64 v26, 0, 1, vcc_lo
	v_cmp_ne_u32_e32 vcc_lo, 0, v28
	v_or_b32_e32 v81, 0x1000, v28
	v_lshl_or_b32 v82, v60, 12, v28
	v_lshrrev_b32_e32 v87, v45, v67
	v_lshlrev_b32_e32 v38, v38, v86
	s_wait_alu 0xfffd
	v_cndmask_b32_e64 v28, 0, 1, vcc_lo
	v_cmp_ne_u32_e32 vcc_lo, v33, v63
	v_lshrrev_b32_e32 v88, v47, v69
	v_lshlrev_b32_e32 v45, v45, v87
	v_lshl_or_b32 v14, v14, 9, 0x7c00
	v_lshrrev_b32_e32 v89, v49, v71
	s_wait_alu 0xfffd
	v_cndmask_b32_e64 v33, 0, 1, vcc_lo
	v_cmp_ne_u32_e32 vcc_lo, v38, v65
	v_lshlrev_b32_e32 v47, v47, v88
	v_lshl_or_b32 v8, v8, 9, 0x7c00
	v_lshrrev_b32_e32 v90, v51, v73
	v_lshlrev_b32_e32 v49, v49, v89
	s_wait_alu 0xfffd
	v_cndmask_b32_e64 v38, 0, 1, vcc_lo
	v_cmp_ne_u32_e32 vcc_lo, v45, v67
	v_lshl_or_b32 v32, v32, 9, 0x7c00
	v_lshrrev_b32_e32 v91, v53, v75
	v_lshlrev_b32_e32 v51, v51, v90
	v_lshl_or_b32 v16, v16, 9, 0x7c00
	s_wait_alu 0xfffd
	v_cndmask_b32_e64 v45, 0, 1, vcc_lo
	v_cmp_ne_u32_e32 vcc_lo, v47, v69
	v_lshrrev_b32_e32 v92, v55, v77
	v_lshlrev_b32_e32 v53, v53, v91
	v_lshl_or_b32 v22, v22, 9, 0x7c00
	v_lshrrev_b32_e32 v93, v57, v79
	s_wait_alu 0xfffd
	v_cndmask_b32_e64 v47, 0, 1, vcc_lo
	v_cmp_ne_u32_e32 vcc_lo, v49, v71
	v_lshlrev_b32_e32 v55, v55, v92
	v_or_b32_e32 v83, 0x1000, v30
	v_lshl_or_b32 v10, v10, 9, 0x7c00
	v_lshrrev_b32_e32 v94, v59, v81
	s_wait_alu 0xfffd
	v_cndmask_b32_e64 v49, 0, 1, vcc_lo
	v_cmp_ne_u32_e32 vcc_lo, v51, v73
	v_lshlrev_b32_e32 v57, v57, v93
	v_lshl_or_b32 v20, v20, 9, 0x7c00
	v_lshrrev_b32_e32 v95, v61, v83
	v_lshlrev_b32_e32 v59, v59, v94
	s_wait_alu 0xfffd
	v_cndmask_b32_e64 v51, 0, 1, vcc_lo
	v_cmp_ne_u32_e32 vcc_lo, v53, v75
	v_lshl_or_b32 v12, v12, 9, 0x7c00
	v_lshlrev_b32_e32 v61, v61, v95
	v_or_b32_e32 v33, v85, v33
	v_or_b32_e32 v38, v86, v38
	s_wait_alu 0xfffd
	v_cndmask_b32_e64 v53, 0, 1, vcc_lo
	v_cmp_ne_u32_e32 vcc_lo, v55, v77
	v_or_b32_e32 v45, v87, v45
	v_or_b32_e32 v47, v88, v47
	;; [unrolled: 1-line block ×4, first 2 shown]
	s_wait_alu 0xfffd
	v_cndmask_b32_e64 v55, 0, 1, vcc_lo
	v_cmp_ne_u32_e32 vcc_lo, v57, v79
	v_or_b32_e32 v53, v91, v53
	v_lshl_or_b32 v26, v26, 9, 0x7c00
	v_lshl_or_b32 v28, v28, 9, 0x7c00
	v_or_b32_e32 v55, v92, v55
	s_wait_alu 0xfffd
	v_cndmask_b32_e64 v57, 0, 1, vcc_lo
	v_cmp_ne_u32_e32 vcc_lo, v59, v81
	v_lshrrev_b32_e32 v9, 16, v9
	v_lshrrev_b32_e32 v15, 16, v15
	;; [unrolled: 1-line block ×3, first 2 shown]
	v_or_b32_e32 v57, v93, v57
	s_wait_alu 0xfffd
	v_cndmask_b32_e64 v59, 0, 1, vcc_lo
	v_cmp_ne_u32_e32 vcc_lo, v61, v83
	v_lshrrev_b32_e32 v11, 16, v11
	v_lshrrev_b32_e32 v23, 16, v23
	;; [unrolled: 1-line block ×3, first 2 shown]
	v_or_b32_e32 v59, v94, v59
	s_wait_alu 0xfffd
	v_cndmask_b32_e64 v61, 0, 1, vcc_lo
	v_cmp_gt_i32_e32 vcc_lo, 1, v34
	v_lshrrev_b32_e32 v17, 16, v17
	v_and_or_b32 v2, 0x1ff, v3, v2
	v_lshrrev_b32_e32 v27, 16, v27
	v_or_b32_e32 v61, v95, v61
	s_wait_alu 0xfffd
	v_cndmask_b32_e32 v33, v64, v33, vcc_lo
	v_cmp_gt_i32_e32 vcc_lo, 1, v39
	v_add_nc_u32_e32 v62, 0xfffffc10, v62
	v_lshrrev_b32_e32 v29, 16, v29
	v_and_or_b32 v0, 0x1ff, v1, v0
	s_wait_alu 0xfffd
	v_dual_cndmask_b32 v38, v66, v38 :: v_dual_and_b32 v63, 7, v33
	v_cmp_gt_i32_e32 vcc_lo, 1, v46
	v_lshrrev_b32_e32 v33, 2, v33
	v_lshl_or_b32 v84, v62, 12, v30
	s_delay_alu instid0(VALU_DEP_4) | instskip(SKIP_4) | instid1(VALU_DEP_3)
	v_cmp_eq_u32_e64 s0, 3, v63
	s_wait_alu 0xfffd
	v_dual_cndmask_b32 v45, v68, v45 :: v_dual_and_b32 v64, 7, v38
	v_cmp_gt_i32_e32 vcc_lo, 1, v48
	v_lshrrev_b32_e32 v38, 2, v38
	v_cmp_lt_i32_e64 s1, 5, v64
	s_delay_alu instid0(VALU_DEP_4)
	v_and_b32_e32 v65, 7, v45
	s_wait_alu 0xfffd
	v_cndmask_b32_e32 v47, v70, v47, vcc_lo
	v_cmp_gt_i32_e32 vcc_lo, 1, v50
	v_cmp_eq_u32_e64 s2, 3, v64
	v_lshrrev_b32_e32 v45, 2, v45
	v_cmp_lt_i32_e64 s3, 5, v65
	s_wait_alu 0xfffd
	v_dual_cndmask_b32 v49, v72, v49 :: v_dual_and_b32 v66, 7, v47
	v_cmp_gt_i32_e32 vcc_lo, 1, v52
	v_cmp_eq_u32_e64 s4, 3, v65
	v_lshrrev_b32_e32 v47, 2, v47
	s_delay_alu instid0(VALU_DEP_4)
	v_cmp_lt_i32_e64 s5, 5, v66
	v_and_b32_e32 v67, 7, v49
	s_wait_alu 0xfffd
	v_cndmask_b32_e32 v51, v74, v51, vcc_lo
	v_cmp_gt_i32_e32 vcc_lo, 1, v54
	v_cmp_eq_u32_e64 s6, 3, v66
	v_lshrrev_b32_e32 v49, 2, v49
	v_cmp_lt_i32_e64 s7, 5, v67
	s_wait_alu 0xfffd
	v_dual_cndmask_b32 v53, v76, v53 :: v_dual_and_b32 v68, 7, v51
	v_cmp_gt_i32_e32 vcc_lo, 1, v56
	v_cmp_eq_u32_e64 s8, 3, v67
	v_lshrrev_b32_e32 v51, 2, v51
	s_delay_alu instid0(VALU_DEP_4)
	v_cmp_lt_i32_e64 s9, 5, v68
	;; [unrolled: 14-line block ×3, first 2 shown]
	v_and_b32_e32 v71, 7, v57
	s_wait_alu 0xfffd
	v_cndmask_b32_e32 v59, v82, v59, vcc_lo
	v_cmp_lt_i32_e32 vcc_lo, 5, v63
	v_cmp_eq_u32_e64 s14, 3, v70
	v_lshrrev_b32_e32 v57, 2, v57
	v_cmp_lt_i32_e64 s15, 5, v71
	v_and_b32_e32 v72, 7, v59
	s_or_b32 vcc_lo, s0, vcc_lo
	v_cmp_eq_u32_e64 s16, 3, v71
	s_wait_alu 0xfffe
	v_add_co_ci_u32_e32 v33, vcc_lo, 0, v33, vcc_lo
	s_or_b32 vcc_lo, s2, s1
	v_cmp_lt_i32_e64 s17, 5, v72
	s_wait_alu 0xfffe
	v_add_co_ci_u32_e32 v38, vcc_lo, 0, v38, vcc_lo
	s_or_b32 vcc_lo, s4, s3
	v_cmp_eq_u32_e64 s18, 3, v72
	s_wait_alu 0xfffe
	v_add_co_ci_u32_e32 v45, vcc_lo, 0, v45, vcc_lo
	s_or_b32 vcc_lo, s6, s5
	v_lshrrev_b32_e32 v59, 2, v59
	s_wait_alu 0xfffe
	v_add_co_ci_u32_e32 v47, vcc_lo, 0, v47, vcc_lo
	s_or_b32 vcc_lo, s8, s7
	s_wait_alu 0xfffe
	v_add_co_ci_u32_e32 v49, vcc_lo, 0, v49, vcc_lo
	s_or_b32 vcc_lo, s10, s9
	;; [unrolled: 3-line block ×6, first 2 shown]
	s_wait_alu 0xfffe
	v_add_co_ci_u32_e32 v59, vcc_lo, 0, v59, vcc_lo
	v_cmp_gt_i32_e32 vcc_lo, 31, v34
	s_wait_alu 0xfffd
	v_cndmask_b32_e32 v33, 0x7c00, v33, vcc_lo
	v_cmp_gt_i32_e32 vcc_lo, 31, v39
	s_wait_alu 0xfffd
	v_cndmask_b32_e32 v38, 0x7c00, v38, vcc_lo
	;; [unrolled: 3-line block ×10, first 2 shown]
	v_cmp_eq_u32_e32 vcc_lo, 0x40f, v34
	s_wait_alu 0xfffd
	v_cndmask_b32_e32 v32, v33, v32, vcc_lo
	v_cmp_eq_u32_e32 vcc_lo, 0x40f, v39
	s_delay_alu instid0(VALU_DEP_2) | instskip(SKIP_3) | instid1(VALU_DEP_2)
	v_and_or_b32 v32, 0x8000, v35, v32
	s_wait_alu 0xfffd
	v_cndmask_b32_e32 v8, v38, v8, vcc_lo
	v_cmp_eq_u32_e32 vcc_lo, 0x40f, v46
	v_and_or_b32 v8, 0x8000, v9, v8
	s_wait_alu 0xfffd
	v_cndmask_b32_e32 v14, v45, v14, vcc_lo
	v_cmp_eq_u32_e32 vcc_lo, 0x40f, v48
	s_delay_alu instid0(VALU_DEP_2) | instskip(SKIP_3) | instid1(VALU_DEP_3)
	v_and_or_b32 v9, 0x8000, v15, v14
	s_wait_alu 0xfffd
	v_cndmask_b32_e32 v16, v47, v16, vcc_lo
	v_cmp_eq_u32_e32 vcc_lo, 0x40f, v50
	v_and_b32_e32 v9, 0xffff, v9
	s_delay_alu instid0(VALU_DEP_3) | instskip(SKIP_3) | instid1(VALU_DEP_3)
	v_and_or_b32 v14, 0x8000, v17, v16
	s_wait_alu 0xfffd
	v_cndmask_b32_e32 v20, v49, v20, vcc_lo
	v_cmp_eq_u32_e32 vcc_lo, 0x40f, v52
	v_lshl_or_b32 v9, v14, 16, v9
	s_delay_alu instid0(VALU_DEP_3)
	v_and_or_b32 v15, 0x8000, v21, v20
	s_wait_alu 0xfffd
	v_cndmask_b32_e32 v10, v51, v10, vcc_lo
	v_cmp_eq_u32_e32 vcc_lo, 0x40f, v54
	v_lshrrev_b32_e32 v14, 8, v3
	s_wait_loadcnt 0x3
	v_lshrrev_b32_e32 v21, 16, v4
	v_and_b32_e32 v15, 0xffff, v15
	v_and_or_b32 v10, 0x8000, v11, v10
	s_wait_alu 0xfffd
	v_cndmask_b32_e32 v22, v53, v22, vcc_lo
	v_cmp_eq_u32_e32 vcc_lo, 0x40f, v56
	s_delay_alu instid0(VALU_DEP_3) | instskip(NEXT) | instid1(VALU_DEP_3)
	v_lshl_or_b32 v10, v10, 16, v15
	v_and_or_b32 v11, 0x8000, v23, v22
	s_wait_alu 0xfffd
	v_cndmask_b32_e32 v12, v55, v12, vcc_lo
	v_cmp_eq_u32_e32 vcc_lo, 0x40f, v58
	v_bfe_u32 v15, v3, 20, 11
	v_lshrrev_b32_e32 v3, 16, v3
	v_and_b32_e32 v11, 0xffff, v11
	v_and_or_b32 v12, 0x8000, v13, v12
	s_wait_alu 0xfffd
	v_dual_cndmask_b32 v26, v57, v26 :: v_dual_and_b32 v13, 0xffff, v32
	v_cmp_eq_u32_e32 vcc_lo, 0x40f, v60
	s_delay_alu instid0(VALU_DEP_3) | instskip(NEXT) | instid1(VALU_DEP_3)
	v_lshl_or_b32 v11, v12, 16, v11
	v_lshl_or_b32 v8, v8, 16, v13
	s_clause 0x3
	global_store_b32 v[18:19], v8, off
	global_store_b32 v[41:42], v9, off
	global_store_b32 v[43:44], v10, off
	global_store_b32 v[24:25], v11, off
	s_wait_alu 0xfffd
	v_cndmask_b32_e32 v16, v59, v28, vcc_lo
	v_cvt_f32_f16_e32 v8, v36
	v_cmp_gt_i32_e32 vcc_lo, 1, v62
	v_add_nc_u32_e32 v10, 0x600, v40
	v_and_or_b32 v12, 0x8000, v27, v26
	v_and_or_b32 v16, 0x8000, v29, v16
	v_cvt_f64_f32_e32 v[8:9], v8
	s_wait_alu 0xfffd
	v_cndmask_b32_e32 v13, v84, v61, vcc_lo
	v_cmp_ne_u32_e32 vcc_lo, 0, v2
	ds_load_2addr_b32 v[10:11], v10 offset0:106 offset1:176
	v_and_b32_e32 v12, 0xffff, v12
	v_add_nc_u32_e32 v26, 0xfffffc10, v15
	v_and_b32_e32 v17, 7, v13
	s_wait_alu 0xfffd
	v_cndmask_b32_e64 v2, 0, 1, vcc_lo
	v_lshrrev_b32_e32 v13, 2, v13
	v_lshl_or_b32 v16, v16, 16, v12
	v_cmp_lt_i32_e32 vcc_lo, 5, v17
	v_cmp_eq_u32_e64 s0, 3, v17
	v_and_or_b32 v2, 0xffe, v14, v2
	v_sub_nc_u32_e32 v14, 0x3f1, v15
	s_delay_alu instid0(VALU_DEP_3) | instskip(NEXT) | instid1(VALU_DEP_2)
	s_or_b32 vcc_lo, s0, vcc_lo
	v_or_b32_e32 v17, 0x1000, v2
	s_delay_alu instid0(VALU_DEP_2)
	v_med3_i32 v14, v14, 0, 13
	s_wait_alu 0xfffe
	v_add_co_ci_u32_e32 v18, vcc_lo, 0, v13, vcc_lo
	v_add_co_u32 v12, vcc_lo, v24, s22
	s_wait_alu 0xfffd
	v_add_co_ci_u32_e32 v13, vcc_lo, s23, v25, vcc_lo
	v_lshrrev_b32_e32 v19, v14, v17
	v_cmp_gt_i32_e32 vcc_lo, 31, v62
	s_wait_dscnt 0x0
	v_lshrrev_b32_e32 v20, 16, v10
	v_bfe_u32 v24, v1, 20, 11
	global_load_b32 v25, v37, s[20:21] offset:3080
	v_lshlrev_b32_e32 v14, v14, v19
	s_wait_alu 0xfffd
	v_cndmask_b32_e32 v18, 0x7c00, v18, vcc_lo
	v_cmp_ne_u32_e32 vcc_lo, 0, v30
	v_mul_f16_e32 v22, v20, v21
	global_store_b32 v[12:13], v16, off
	s_wait_alu 0xfffd
	v_cndmask_b32_e64 v23, 0, 1, vcc_lo
	v_cmp_ne_u32_e32 vcc_lo, v14, v17
	v_fmac_f16_e32 v22, v10, v4
	v_mul_f64_e32 v[8:9], s[24:25], v[8:9]
	v_mul_f16_e32 v10, v10, v21
	v_lshl_or_b32 v23, v23, 9, 0x7c00
	s_wait_alu 0xfffd
	v_cndmask_b32_e64 v17, 0, 1, vcc_lo
	v_cmp_ne_u32_e32 vcc_lo, 0, v0
	v_cvt_f32_f16_e32 v14, v22
	v_lshrrev_b32_e32 v22, 8, v1
	v_fma_f16 v4, v4, v20, -v10
	v_or_b32_e32 v17, v19, v17
	s_wait_alu 0xfffd
	v_cndmask_b32_e64 v0, 0, 1, vcc_lo
	v_cvt_f64_f32_e32 v[14:15], v14
	v_lshl_or_b32 v19, v26, 12, v2
	v_cmp_gt_i32_e32 vcc_lo, 1, v26
	v_cvt_f32_f16_e32 v4, v4
	v_and_or_b32 v0, 0xffe, v22, v0
	v_sub_nc_u32_e32 v22, 0x3f1, v24
	s_wait_alu 0xfffd
	v_cndmask_b32_e32 v17, v19, v17, vcc_lo
	v_cmp_eq_u32_e32 vcc_lo, 0x40f, v62
	v_or_b32_e32 v27, 0x1000, v0
	v_med3_i32 v22, v22, 0, 13
	v_lshrrev_b32_e32 v19, 16, v31
	v_and_b32_e32 v28, 7, v17
	s_wait_alu 0xfffd
	v_cndmask_b32_e32 v18, v18, v23, vcc_lo
	v_lshrrev_b32_e32 v10, 2, v17
	v_lshrrev_b32_e32 v23, v22, v27
	v_cmp_lt_i32_e32 vcc_lo, 5, v28
	v_cmp_eq_u32_e64 s0, 3, v28
	v_and_or_b32 v18, 0x8000, v19, v18
	s_delay_alu instid0(VALU_DEP_4) | instskip(SKIP_1) | instid1(VALU_DEP_4)
	v_lshlrev_b32_e32 v16, v22, v23
	v_add_nc_u32_e32 v19, 0xfffffc10, v24
	s_or_b32 vcc_lo, s0, vcc_lo
	s_delay_alu instid0(VALU_DEP_3) | instskip(NEXT) | instid1(VALU_DEP_3)
	v_and_b32_e32 v18, 0xffff, v18
	v_cmp_ne_u32_e64 s1, v16, v27
	s_wait_alu 0xfffe
	v_add_co_ci_u32_e32 v10, vcc_lo, 0, v10, vcc_lo
	v_cmp_ne_u32_e32 vcc_lo, 0, v2
	v_lshl_or_b32 v21, v19, 12, v0
	s_wait_alu 0xf1ff
	v_cndmask_b32_e64 v16, 0, 1, s1
	v_and_or_b32 v8, 0x1ff, v9, v8
	v_cmp_eq_u32_e64 s1, 0x40f, v26
	s_wait_alu 0xfffd
	v_cndmask_b32_e64 v2, 0, 1, vcc_lo
	v_cmp_gt_i32_e32 vcc_lo, 1, v19
	v_or_b32_e32 v20, v23, v16
	v_cvt_f64_f32_e32 v[16:17], v4
	v_mul_f64_e32 v[14:15], s[24:25], v[14:15]
	v_lshl_or_b32 v2, v2, 9, 0x7c00
	s_wait_alu 0xfffd
	v_cndmask_b32_e32 v4, v21, v20, vcc_lo
	v_cmp_ne_u32_e32 vcc_lo, 0, v8
	v_lshrrev_b32_e32 v20, 8, v9
	v_bfe_u32 v21, v9, 20, 11
	s_delay_alu instid0(VALU_DEP_4)
	v_and_b32_e32 v22, 7, v4
	s_wait_alu 0xfffd
	v_cndmask_b32_e64 v8, 0, 1, vcc_lo
	v_cmp_gt_i32_e32 vcc_lo, 31, v26
	v_lshrrev_b32_e32 v4, 2, v4
	v_cmp_eq_u32_e64 s0, 3, v22
	s_delay_alu instid0(VALU_DEP_4)
	v_and_or_b32 v8, 0xffe, v20, v8
	v_sub_nc_u32_e32 v20, 0x3f1, v21
	s_wait_alu 0xfffd
	v_cndmask_b32_e32 v10, 0x7c00, v10, vcc_lo
	v_cmp_lt_i32_e32 vcc_lo, 5, v22
	v_add_nc_u32_e32 v21, 0xfffffc10, v21
	v_or_b32_e32 v22, 0x1000, v8
	v_med3_i32 v20, v20, 0, 13
	s_wait_alu 0xf1ff
	v_cndmask_b32_e64 v2, v10, v2, s1
	s_or_b32 vcc_lo, s0, vcc_lo
	s_wait_alu 0xfffe
	v_add_co_ci_u32_e32 v4, vcc_lo, 0, v4, vcc_lo
	v_lshrrev_b32_e32 v10, v20, v22
	v_cmp_gt_i32_e32 vcc_lo, 31, v19
	v_and_or_b32 v23, 0x8000, v3, v2
	s_delay_alu instid0(VALU_DEP_3)
	v_lshlrev_b32_e32 v2, v20, v10
	s_wait_alu 0xfffd
	v_cndmask_b32_e32 v4, 0x7c00, v4, vcc_lo
	v_cmp_ne_u32_e32 vcc_lo, 0, v0
	v_lshl_or_b32 v18, v23, 16, v18
	s_wait_alu 0xfffd
	v_cndmask_b32_e64 v0, 0, 1, vcc_lo
	v_cmp_ne_u32_e32 vcc_lo, v2, v22
	v_mul_f64_e32 v[2:3], s[24:25], v[16:17]
	v_lshrrev_b32_e32 v16, 16, v11
	s_wait_loadcnt 0x3
	v_lshrrev_b32_e32 v17, 16, v5
	v_and_or_b32 v14, 0x1ff, v15, v14
	s_wait_alu 0xfffd
	v_cndmask_b32_e64 v20, 0, 1, vcc_lo
	v_cmp_gt_i32_e32 vcc_lo, 1, v21
	v_lshl_or_b32 v0, v0, 9, 0x7c00
	v_mul_f16_e32 v22, v16, v17
	v_bfe_u32 v24, v15, 20, 11
	v_or_b32_e32 v10, v10, v20
	v_lshl_or_b32 v20, v21, 12, v8
	s_delay_alu instid0(VALU_DEP_4) | instskip(SKIP_2) | instid1(VALU_DEP_3)
	v_fmac_f16_e32 v22, v11, v5
	v_mul_f16_e32 v11, v11, v17
	s_wait_alu 0xfffd
	v_cndmask_b32_e32 v10, v20, v10, vcc_lo
	v_cmp_ne_u32_e32 vcc_lo, 0, v14
	v_lshrrev_b32_e32 v20, 8, v15
	v_fma_f16 v5, v5, v16, -v11
	s_wait_alu 0xfffd
	v_cndmask_b32_e64 v14, 0, 1, vcc_lo
	v_cmp_eq_u32_e32 vcc_lo, 0x40f, v19
	v_and_b32_e32 v19, 7, v10
	v_lshrrev_b32_e32 v10, 2, v10
	s_delay_alu instid0(VALU_DEP_4)
	v_and_or_b32 v14, 0xffe, v20, v14
	s_wait_alu 0xfffd
	v_cndmask_b32_e32 v4, v4, v0, vcc_lo
	v_cvt_f32_f16_e32 v0, v22
	v_sub_nc_u32_e32 v20, 0x3f1, v24
	v_cmp_lt_i32_e32 vcc_lo, 5, v19
	v_cmp_eq_u32_e64 s0, 3, v19
	v_lshrrev_b32_e32 v22, 16, v1
	v_cvt_f64_f32_e32 v[0:1], v0
	v_or_b32_e32 v26, 0x1000, v14
	v_med3_i32 v20, v20, 0, 13
	s_or_b32 vcc_lo, s0, vcc_lo
	v_and_or_b32 v19, 0x8000, v22, v4
	s_wait_alu 0xfffe
	v_add_co_ci_u32_e32 v10, vcc_lo, 0, v10, vcc_lo
	v_lshrrev_b32_e32 v4, v20, v26
	v_cmp_ne_u32_e32 vcc_lo, 0, v8
	v_and_or_b32 v2, 0x1ff, v3, v2
	v_add_nc_u32_e32 v22, 0xfffffc10, v24
	v_bfe_u32 v23, v3, 20, 11
	v_lshlrev_b32_e32 v20, v20, v4
	s_wait_alu 0xfffd
	v_cndmask_b32_e64 v8, 0, 1, vcc_lo
	v_cmp_gt_i32_e32 vcc_lo, 31, v21
	v_lshrrev_b32_e32 v17, 8, v3
	v_sub_nc_u32_e32 v11, 0x3f1, v23
	v_lshrrev_b32_e32 v24, 16, v9
	v_lshl_or_b32 v8, v8, 9, 0x7c00
	s_wait_alu 0xfffd
	v_cndmask_b32_e32 v10, 0x7c00, v10, vcc_lo
	v_cmp_ne_u32_e32 vcc_lo, v20, v26
	v_and_b32_e32 v19, 0xffff, v19
	s_wait_alu 0xfffd
	v_cndmask_b32_e64 v20, 0, 1, vcc_lo
	v_cmp_ne_u32_e32 vcc_lo, 0, v2
	s_delay_alu instid0(VALU_DEP_2) | instskip(SKIP_4) | instid1(VALU_DEP_3)
	v_or_b32_e32 v4, v4, v20
	s_wait_alu 0xfffd
	v_cndmask_b32_e64 v2, 0, 1, vcc_lo
	v_lshl_or_b32 v20, v22, 12, v14
	v_cmp_gt_i32_e32 vcc_lo, 1, v22
	v_and_or_b32 v2, 0xffe, v17, v2
	s_wait_alu 0xfffd
	s_delay_alu instid0(VALU_DEP_3)
	v_cndmask_b32_e32 v16, v20, v4, vcc_lo
	v_cvt_f32_f16_e32 v4, v5
	v_med3_i32 v20, v11, 0, 13
	v_add_nc_u32_e32 v11, 0x800, v40
	v_cmp_eq_u32_e32 vcc_lo, 0x40f, v21
	v_mul_f64_e32 v[0:1], s[24:25], v[0:1]
	v_cvt_f64_f32_e32 v[4:5], v4
	v_or_b32_e32 v17, 0x1000, v2
	v_and_b32_e32 v26, 7, v16
	s_wait_alu 0xfffd
	v_cndmask_b32_e32 v21, v10, v8, vcc_lo
	ds_load_2addr_b32 v[10:11], v11 offset0:118 offset1:188
	v_add_co_u32 v8, vcc_lo, v12, s22
	v_lshrrev_b32_e32 v27, v20, v17
	s_wait_alu 0xfffd
	v_add_co_ci_u32_e32 v9, vcc_lo, s23, v13, vcc_lo
	v_cmp_lt_i32_e32 vcc_lo, 5, v26
	v_cmp_eq_u32_e64 s0, 3, v26
	v_lshlrev_b32_e32 v12, v20, v27
	v_lshrrev_b32_e32 v13, 2, v16
	v_add_nc_u32_e32 v16, 0xfffffc10, v23
	s_wait_loadcnt 0x2
	v_lshrrev_b32_e32 v20, 16, v6
	s_or_b32 vcc_lo, s0, vcc_lo
	v_cmp_ne_u32_e64 s1, v12, v17
	s_wait_alu 0xfffe
	v_add_co_ci_u32_e32 v13, vcc_lo, 0, v13, vcc_lo
	v_cmp_ne_u32_e32 vcc_lo, 0, v14
	v_and_or_b32 v21, 0x8000, v24, v21
	s_wait_alu 0xf1ff
	v_cndmask_b32_e64 v12, 0, 1, s1
	v_lshl_or_b32 v23, v16, 12, v2
	s_wait_dscnt 0x0
	v_lshrrev_b32_e32 v17, 16, v10
	s_wait_alu 0xfffd
	v_cndmask_b32_e64 v14, 0, 1, vcc_lo
	v_cmp_gt_i32_e32 vcc_lo, 1, v16
	v_or_b32_e32 v12, v27, v12
	v_lshl_or_b32 v19, v21, 16, v19
	v_mul_f16_e32 v24, v17, v20
	s_wait_alu 0xfffd
	s_delay_alu instid0(VALU_DEP_3) | instskip(SKIP_1) | instid1(VALU_DEP_3)
	v_cndmask_b32_e32 v23, v23, v12, vcc_lo
	v_cmp_gt_i32_e32 vcc_lo, 31, v22
	v_fmac_f16_e32 v24, v10, v6
	v_mul_f16_e32 v10, v10, v20
	v_and_or_b32 v0, 0x1ff, v1, v0
	v_mul_f64_e32 v[4:5], s[24:25], v[4:5]
	s_wait_alu 0xfffd
	v_cndmask_b32_e32 v12, 0x7c00, v13, vcc_lo
	v_lshl_or_b32 v13, v14, 9, 0x7c00
	v_cvt_f32_f16_e32 v24, v24
	v_cmp_eq_u32_e32 vcc_lo, 0x40f, v22
	v_and_b32_e32 v14, 7, v23
	v_cmp_ne_u32_e64 s0, 0, v0
	v_bfe_u32 v26, v1, 20, 11
	v_fma_f16 v6, v6, v17, -v10
	s_wait_alu 0xfffd
	v_cndmask_b32_e32 v22, v12, v13, vcc_lo
	v_cvt_f64_f32_e32 v[12:13], v24
	v_cmp_lt_i32_e32 vcc_lo, 5, v14
	s_wait_alu 0xf1ff
	v_cndmask_b32_e64 v0, 0, 1, s0
	v_cmp_eq_u32_e64 s0, 3, v14
	v_lshrrev_b32_e32 v24, 8, v1
	v_lshrrev_b32_e32 v14, 16, v15
	;; [unrolled: 1-line block ×3, first 2 shown]
	v_sub_nc_u32_e32 v23, 0x3f1, v26
	s_or_b32 vcc_lo, s0, vcc_lo
	v_and_or_b32 v0, 0xffe, v24, v0
	v_and_or_b32 v14, 0x8000, v14, v22
	s_wait_alu 0xfffe
	v_add_co_ci_u32_e32 v15, vcc_lo, 0, v15, vcc_lo
	v_cmp_ne_u32_e32 vcc_lo, 0, v2
	v_or_b32_e32 v24, 0x1000, v0
	v_med3_i32 v23, v23, 0, 13
	v_add_nc_u32_e32 v20, 0xfffffc10, v26
	v_cvt_f32_f16_e32 v6, v6
	s_wait_alu 0xfffd
	v_cndmask_b32_e64 v2, 0, 1, vcc_lo
	v_cmp_gt_i32_e32 vcc_lo, 31, v16
	v_lshrrev_b32_e32 v21, v23, v24
	v_lshrrev_b32_e32 v1, 16, v1
	s_delay_alu instid0(VALU_DEP_4)
	v_lshl_or_b32 v2, v2, 9, 0x7c00
	s_wait_alu 0xfffd
	v_cndmask_b32_e32 v15, 0x7c00, v15, vcc_lo
	v_cmp_eq_u32_e32 vcc_lo, 0x40f, v16
	v_lshlrev_b32_e32 v22, v23, v21
	v_lshrrev_b32_e32 v16, 16, v3
	v_and_or_b32 v4, 0x1ff, v5, v4
	v_and_b32_e32 v23, 0xffff, v14
	s_wait_alu 0xfffd
	v_cndmask_b32_e32 v15, v15, v2, vcc_lo
	v_add_co_u32 v2, vcc_lo, v8, s22
	s_wait_alu 0xfffd
	v_add_co_ci_u32_e32 v3, vcc_lo, s23, v9, vcc_lo
	v_cmp_ne_u32_e32 vcc_lo, v22, v24
	v_lshrrev_b32_e32 v10, 8, v5
	v_bfe_u32 v17, v5, 20, 11
	v_mul_f64_e32 v[12:13], s[24:25], v[12:13]
	v_and_or_b32 v16, 0x8000, v16, v15
	s_wait_alu 0xfffd
	v_cndmask_b32_e64 v14, 0, 1, vcc_lo
	v_cmp_ne_u32_e32 vcc_lo, 0, v4
	v_lshl_or_b32 v15, v20, 12, v0
	global_store_b32 v[8:9], v18, off
	global_store_b32 v[2:3], v19, off
	v_lshrrev_b32_e32 v18, 16, v11
	v_or_b32_e32 v14, v21, v14
	s_wait_alu 0xfffd
	v_cndmask_b32_e64 v4, 0, 1, vcc_lo
	v_cmp_gt_i32_e32 vcc_lo, 1, v20
	s_wait_loadcnt 0x1
	v_lshrrev_b32_e32 v19, 16, v7
	v_lshl_or_b32 v16, v16, 16, v23
	v_lshrrev_b32_e32 v5, 16, v5
	v_and_or_b32 v4, 0xffe, v10, v4
	v_sub_nc_u32_e32 v10, 0x3f1, v17
	s_wait_alu 0xfffd
	v_cndmask_b32_e32 v21, v15, v14, vcc_lo
	v_cvt_f64_f32_e32 v[14:15], v6
	v_add_co_u32 v2, vcc_lo, v2, s22
	v_or_b32_e32 v6, 0x1000, v4
	v_med3_i32 v10, v10, 0, 13
	v_and_b32_e32 v8, 7, v21
	s_wait_alu 0xfffd
	v_add_co_ci_u32_e32 v3, vcc_lo, s23, v3, vcc_lo
	s_delay_alu instid0(VALU_DEP_3) | instskip(NEXT) | instid1(VALU_DEP_3)
	v_lshrrev_b32_e32 v9, v10, v6
	v_cmp_lt_i32_e32 vcc_lo, 5, v8
	v_cmp_eq_u32_e64 s0, 3, v8
	v_lshrrev_b32_e32 v8, 2, v21
	s_delay_alu instid0(VALU_DEP_4) | instskip(NEXT) | instid1(VALU_DEP_3)
	v_lshlrev_b32_e32 v10, v10, v9
	s_or_b32 vcc_lo, s0, vcc_lo
	s_wait_alu 0xfffe
	s_delay_alu instid0(VALU_DEP_2) | instskip(NEXT) | instid1(VALU_DEP_2)
	v_add_co_ci_u32_e32 v21, vcc_lo, 0, v8, vcc_lo
	v_cmp_ne_u32_e64 s1, v10, v6
	v_add_nc_u32_e32 v10, 0xfffffc10, v17
	v_mul_f16_e32 v17, v18, v19
	v_cmp_ne_u32_e32 vcc_lo, 0, v0
	v_lshrrev_b32_e32 v22, 8, v13
	s_wait_alu 0xf1ff
	v_cndmask_b32_e64 v6, 0, 1, s1
	v_lshl_or_b32 v8, v10, 12, v4
	v_fmac_f16_e32 v17, v11, v7
	s_wait_alu 0xfffd
	v_cndmask_b32_e64 v0, 0, 1, vcc_lo
	v_cmp_gt_i32_e32 vcc_lo, 1, v10
	v_or_b32_e32 v6, v9, v6
	v_and_or_b32 v9, 0x1ff, v13, v12
	v_cvt_f32_f16_e32 v12, v17
	v_lshl_or_b32 v0, v0, 9, 0x7c00
	v_cmp_eq_u32_e64 s1, 0x40f, v20
	s_wait_alu 0xfffd
	v_cndmask_b32_e32 v6, v8, v6, vcc_lo
	v_cmp_ne_u32_e32 vcc_lo, 0, v9
	v_cvt_f64_f32_e32 v[8:9], v12
	v_bfe_u32 v12, v13, 20, 11
	v_mul_f64_e32 v[14:15], s[24:25], v[14:15]
	v_and_b32_e32 v23, 7, v6
	s_wait_alu 0xfffd
	v_cndmask_b32_e64 v17, 0, 1, vcc_lo
	v_cmp_gt_i32_e32 vcc_lo, 31, v20
	v_lshrrev_b32_e32 v6, 2, v6
	v_cmp_eq_u32_e64 s0, 3, v23
	s_delay_alu instid0(VALU_DEP_4)
	v_and_or_b32 v17, 0xffe, v22, v17
	v_sub_nc_u32_e32 v22, 0x3f1, v12
	s_wait_alu 0xfffd
	v_cndmask_b32_e32 v21, 0x7c00, v21, vcc_lo
	v_cmp_lt_i32_e32 vcc_lo, 5, v23
	v_add_nc_u32_e32 v12, 0xfffffc10, v12
	v_or_b32_e32 v23, 0x1000, v17
	v_med3_i32 v22, v22, 0, 13
	s_wait_alu 0xf1ff
	v_cndmask_b32_e64 v0, v21, v0, s1
	s_or_b32 vcc_lo, s0, vcc_lo
	s_wait_alu 0xfffe
	v_add_co_ci_u32_e32 v6, vcc_lo, 0, v6, vcc_lo
	v_lshrrev_b32_e32 v20, v22, v23
	v_cmp_ne_u32_e32 vcc_lo, 0, v4
	v_and_or_b32 v21, 0x8000, v1, v0
	s_delay_alu instid0(VALU_DEP_3) | instskip(SKIP_4) | instid1(VALU_DEP_3)
	v_lshlrev_b32_e32 v0, v22, v20
	s_wait_alu 0xfffd
	v_cndmask_b32_e64 v4, 0, 1, vcc_lo
	v_cmp_gt_i32_e32 vcc_lo, 31, v10
	v_and_b32_e32 v21, 0xffff, v21
	v_lshl_or_b32 v4, v4, 9, 0x7c00
	s_wait_alu 0xfffd
	v_cndmask_b32_e32 v1, 0x7c00, v6, vcc_lo
	v_cmp_ne_u32_e32 vcc_lo, v0, v23
	v_add_nc_u32_e32 v6, 0xc00, v40
	v_mul_f64_e32 v[8:9], s[24:25], v[8:9]
	s_wait_alu 0xfffd
	v_cndmask_b32_e64 v22, 0, 1, vcc_lo
	v_cmp_eq_u32_e32 vcc_lo, 0x40f, v10
	v_mul_f16_e32 v10, v11, v19
	v_lshl_or_b32 v11, v12, 12, v17
	v_and_or_b32 v14, 0x1ff, v15, v14
	s_wait_alu 0xfffd
	v_cndmask_b32_e32 v4, v1, v4, vcc_lo
	ds_load_2addr_b32 v[0:1], v6 offset0:2 offset1:72
	v_or_b32_e32 v6, v20, v22
	v_fma_f16 v7, v7, v18, -v10
	v_cmp_gt_i32_e32 vcc_lo, 1, v12
	v_and_or_b32 v18, 0x8000, v5, v4
	s_delay_alu instid0(VALU_DEP_3)
	v_cvt_f32_f16_e32 v7, v7
	s_wait_alu 0xfffd
	v_cndmask_b32_e32 v6, v11, v6, vcc_lo
	v_cmp_ne_u32_e32 vcc_lo, 0, v14
	v_lshrrev_b32_e32 v11, 8, v15
	v_bfe_u32 v14, v15, 20, 11
	v_cvt_f64_f32_e32 v[4:5], v7
	v_and_b32_e32 v19, 7, v6
	s_wait_alu 0xfffd
	v_cndmask_b32_e64 v10, 0, 1, vcc_lo
	v_lshrrev_b32_e32 v6, 2, v6
	v_sub_nc_u32_e32 v7, 0x3f1, v14
	v_lshl_or_b32 v18, v18, 16, v21
	v_cmp_lt_i32_e32 vcc_lo, 5, v19
	v_and_or_b32 v20, 0xffe, v11, v10
	s_wait_dscnt 0x0
	v_lshrrev_b32_e32 v10, 16, v0
	s_wait_loadcnt 0x0
	v_lshrrev_b32_e32 v11, 16, v25
	v_cmp_eq_u32_e64 s0, 3, v19
	v_med3_i32 v7, v7, 0, 13
	v_or_b32_e32 v22, 0x1000, v20
	v_add_nc_u32_e32 v14, 0xfffffc10, v14
	v_mul_f16_e32 v23, v10, v11
	s_or_b32 vcc_lo, s0, vcc_lo
	v_lshrrev_b32_e32 v15, 16, v15
	s_wait_alu 0xfffe
	v_add_co_ci_u32_e32 v6, vcc_lo, 0, v6, vcc_lo
	v_lshrrev_b32_e32 v19, v7, v22
	v_fmac_f16_e32 v23, v0, v25
	v_cmp_ne_u32_e32 vcc_lo, 0, v17
	v_and_or_b32 v8, 0x1ff, v9, v8
	v_mul_f16_e32 v0, v0, v11
	v_lshlrev_b32_e32 v21, v7, v19
	v_cvt_f32_f16_e32 v7, v23
	s_wait_alu 0xfffd
	v_cndmask_b32_e64 v17, 0, 1, vcc_lo
	v_cmp_gt_i32_e32 vcc_lo, 31, v12
	v_lshrrev_b32_e32 v11, 8, v9
	v_fma_f16 v0, v25, v10, -v0
	v_lshl_or_b32 v10, v14, 12, v20
	v_lshl_or_b32 v17, v17, 9, 0x7c00
	s_wait_alu 0xfffd
	v_cndmask_b32_e32 v23, 0x7c00, v6, vcc_lo
	v_cvt_f64_f32_e32 v[6:7], v7
	v_cmp_ne_u32_e32 vcc_lo, v21, v22
	v_cvt_f32_f16_e32 v0, v0
	v_mul_f64_e32 v[4:5], s[24:25], v[4:5]
	s_wait_alu 0xfffd
	v_cndmask_b32_e64 v21, 0, 1, vcc_lo
	v_cmp_ne_u32_e32 vcc_lo, 0, v8
	s_delay_alu instid0(VALU_DEP_2)
	v_or_b32_e32 v19, v19, v21
	s_wait_alu 0xfffd
	v_cndmask_b32_e64 v8, 0, 1, vcc_lo
	v_bfe_u32 v21, v9, 20, 11
	v_cmp_gt_i32_e32 vcc_lo, 1, v14
	v_lshrrev_b32_e32 v9, 16, v9
	s_delay_alu instid0(VALU_DEP_4) | instskip(NEXT) | instid1(VALU_DEP_4)
	v_and_or_b32 v8, 0xffe, v11, v8
	v_sub_nc_u32_e32 v11, 0x3f1, v21
	s_wait_alu 0xfffd
	v_cndmask_b32_e32 v19, v10, v19, vcc_lo
	v_cmp_eq_u32_e32 vcc_lo, 0x40f, v12
	v_add_nc_u32_e32 v21, 0xfffffc10, v21
	v_or_b32_e32 v22, 0x1000, v8
	v_med3_i32 v24, v11, 0, 13
	v_cvt_f64_f32_e32 v[10:11], v0
	s_wait_alu 0xfffd
	v_dual_cndmask_b32 v0, v23, v17 :: v_dual_and_b32 v23, 7, v19
	v_lshrrev_b32_e32 v17, 16, v13
	v_add_co_u32 v12, vcc_lo, v2, s22
	v_lshrrev_b32_e32 v25, v24, v22
	s_wait_alu 0xfffd
	v_add_co_ci_u32_e32 v13, vcc_lo, s23, v3, vcc_lo
	v_cmp_lt_i32_e32 vcc_lo, 5, v23
	v_cmp_eq_u32_e64 s0, 3, v23
	v_and_or_b32 v0, 0x8000, v17, v0
	v_lshrrev_b32_e32 v17, 2, v19
	v_lshlrev_b32_e32 v24, v24, v25
	v_mul_f64_e32 v[6:7], s[24:25], v[6:7]
	s_or_b32 vcc_lo, s0, vcc_lo
	v_and_b32_e32 v0, 0xffff, v0
	s_wait_alu 0xfffe
	v_add_co_ci_u32_e32 v17, vcc_lo, 0, v17, vcc_lo
	v_cmp_ne_u32_e64 s1, v24, v22
	v_cmp_ne_u32_e32 vcc_lo, 0, v20
	v_lshl_or_b32 v22, v21, 12, v8
	v_and_or_b32 v4, 0x1ff, v5, v4
	s_wait_alu 0xf1ff
	v_cndmask_b32_e64 v19, 0, 1, s1
	s_wait_alu 0xfffd
	v_cndmask_b32_e64 v20, 0, 1, vcc_lo
	v_cmp_gt_i32_e32 vcc_lo, 31, v14
	s_delay_alu instid0(VALU_DEP_3) | instskip(NEXT) | instid1(VALU_DEP_3)
	v_or_b32_e32 v19, v25, v19
	v_lshl_or_b32 v20, v20, 9, 0x7c00
	s_wait_alu 0xfffd
	v_cndmask_b32_e32 v17, 0x7c00, v17, vcc_lo
	v_cmp_gt_i32_e32 vcc_lo, 1, v21
	s_wait_alu 0xfffd
	v_cndmask_b32_e32 v19, v22, v19, vcc_lo
	v_cmp_eq_u32_e32 vcc_lo, 0x40f, v14
	v_mul_f64_e32 v[10:11], s[24:25], v[10:11]
	v_bfe_u32 v22, v5, 20, 11
	s_wait_alu 0xfffd
	v_cndmask_b32_e32 v14, v17, v20, vcc_lo
	v_cmp_ne_u32_e32 vcc_lo, 0, v4
	v_and_b32_e32 v17, 7, v19
	v_lshrrev_b32_e32 v20, 8, v5
	v_lshrrev_b32_e32 v5, 16, v5
	v_and_or_b32 v14, 0x8000, v15, v14
	s_wait_alu 0xfffd
	v_cndmask_b32_e64 v4, 0, 1, vcc_lo
	v_cmp_lt_i32_e32 vcc_lo, 5, v17
	v_cmp_eq_u32_e64 s0, 3, v17
	v_sub_nc_u32_e32 v15, 0x3f1, v22
	v_lshl_or_b32 v0, v14, 16, v0
	v_lshrrev_b32_e32 v14, 2, v19
	v_and_or_b32 v4, 0xffe, v20, v4
	s_or_b32 vcc_lo, s0, vcc_lo
	v_med3_i32 v15, v15, 0, 13
	v_and_or_b32 v6, 0x1ff, v7, v6
	s_wait_alu 0xfffe
	v_add_co_ci_u32_e32 v14, vcc_lo, 0, v14, vcc_lo
	v_or_b32_e32 v17, 0x1000, v4
	v_cmp_ne_u32_e32 vcc_lo, 0, v8
	v_lshrrev_b32_e32 v20, 8, v7
	v_bfe_u32 v23, v7, 20, 11
	v_lshrrev_b32_e32 v7, 16, v7
	v_lshrrev_b32_e32 v19, v15, v17
	s_wait_alu 0xfffd
	v_cndmask_b32_e64 v8, 0, 1, vcc_lo
	v_cmp_gt_i32_e32 vcc_lo, 31, v21
	s_delay_alu instid0(VALU_DEP_3) | instskip(NEXT) | instid1(VALU_DEP_3)
	v_lshlrev_b32_e32 v15, v15, v19
	v_lshl_or_b32 v8, v8, 9, 0x7c00
	s_wait_alu 0xfffd
	v_cndmask_b32_e32 v14, 0x7c00, v14, vcc_lo
	v_cmp_ne_u32_e32 vcc_lo, 0, v6
	v_and_or_b32 v10, 0x1ff, v11, v10
	s_wait_alu 0xfffd
	v_cndmask_b32_e64 v6, 0, 1, vcc_lo
	v_cmp_ne_u32_e32 vcc_lo, v15, v17
	v_add_nc_u32_e32 v17, 0xfffffc10, v22
	v_bfe_u32 v22, v11, 20, 11
	s_delay_alu instid0(VALU_DEP_4)
	v_and_or_b32 v6, 0xffe, v20, v6
	s_wait_alu 0xfffd
	v_cndmask_b32_e64 v15, 0, 1, vcc_lo
	v_sub_nc_u32_e32 v20, 0x3f1, v23
	v_cmp_eq_u32_e32 vcc_lo, 0x40f, v21
	v_lshrrev_b32_e32 v21, 8, v11
	s_delay_alu instid0(VALU_DEP_3)
	v_med3_i32 v20, v20, 0, 13
	s_wait_alu 0xfffd
	v_cndmask_b32_e32 v8, v14, v8, vcc_lo
	v_or_b32_e32 v14, v19, v15
	v_lshl_or_b32 v15, v17, 12, v4
	v_or_b32_e32 v19, 0x1000, v6
	v_cmp_gt_i32_e32 vcc_lo, 1, v17
	v_and_or_b32 v8, 0x8000, v9, v8
	s_wait_alu 0xfffd
	v_cndmask_b32_e32 v14, v15, v14, vcc_lo
	v_lshrrev_b32_e32 v15, v20, v19
	v_cmp_ne_u32_e32 vcc_lo, 0, v10
	v_and_b32_e32 v8, 0xffff, v8
	s_delay_alu instid0(VALU_DEP_4) | instskip(NEXT) | instid1(VALU_DEP_4)
	v_and_b32_e32 v24, 7, v14
	v_lshlrev_b32_e32 v20, v20, v15
	s_wait_alu 0xfffd
	v_cndmask_b32_e64 v10, 0, 1, vcc_lo
	v_lshrrev_b32_e32 v14, 2, v14
	v_cmp_lt_i32_e32 vcc_lo, 5, v24
	v_cmp_ne_u32_e64 s0, v20, v19
	s_delay_alu instid0(VALU_DEP_4)
	v_and_or_b32 v9, 0xffe, v21, v10
	v_sub_nc_u32_e32 v10, 0x3f1, v22
	v_add_nc_u32_e32 v21, 0xfffffc10, v23
	s_wait_alu 0xf1ff
	v_cndmask_b32_e64 v19, 0, 1, s0
	v_cmp_eq_u32_e64 s0, 3, v24
	v_or_b32_e32 v20, 0x1000, v9
	v_med3_i32 v10, v10, 0, 13
	v_lshl_or_b32 v23, v21, 12, v6
	v_or_b32_e32 v15, v15, v19
	s_or_b32 vcc_lo, s0, vcc_lo
	s_wait_alu 0xfffe
	v_add_co_ci_u32_e32 v14, vcc_lo, 0, v14, vcc_lo
	v_lshrrev_b32_e32 v19, v10, v20
	v_cmp_gt_i32_e32 vcc_lo, 1, v21
	s_delay_alu instid0(VALU_DEP_2)
	v_lshlrev_b32_e32 v10, v10, v19
	s_wait_alu 0xfffd
	v_cndmask_b32_e32 v15, v23, v15, vcc_lo
	v_cmp_ne_u32_e32 vcc_lo, 0, v4
	s_wait_alu 0xfffd
	v_cndmask_b32_e64 v4, 0, 1, vcc_lo
	v_cmp_ne_u32_e32 vcc_lo, v10, v20
	v_add_nc_u32_e32 v20, 0xfffffc10, v22
	v_and_b32_e32 v22, 7, v15
	s_delay_alu instid0(VALU_DEP_4)
	v_lshl_or_b32 v4, v4, 9, 0x7c00
	s_wait_alu 0xfffd
	v_cndmask_b32_e64 v10, 0, 1, vcc_lo
	v_cmp_gt_i32_e32 vcc_lo, 31, v17
	v_cmp_gt_i32_e64 s1, 1, v20
	v_cmp_eq_u32_e64 s0, 3, v22
	s_delay_alu instid0(VALU_DEP_4)
	v_or_b32_e32 v10, v19, v10
	v_lshl_or_b32 v19, v20, 12, v9
	s_wait_alu 0xfffd
	v_cndmask_b32_e32 v14, 0x7c00, v14, vcc_lo
	v_cmp_lt_i32_e32 vcc_lo, 5, v22
	s_wait_alu 0xf1ff
	v_cndmask_b32_e64 v10, v19, v10, s1
	v_cmp_eq_u32_e64 s1, 0x40f, v17
	s_or_b32 vcc_lo, s0, vcc_lo
	s_delay_alu instid0(VALU_DEP_1)
	v_cndmask_b32_e64 v4, v14, v4, s1
	v_lshrrev_b32_e32 v14, 2, v15
	v_and_b32_e32 v15, 7, v10
	v_lshrrev_b32_e32 v10, 2, v10
	v_cmp_gt_i32_e64 s1, 31, v21
	s_wait_alu 0xfffe
	v_add_co_ci_u32_e32 v14, vcc_lo, 0, v14, vcc_lo
	v_cmp_ne_u32_e32 vcc_lo, 0, v6
	v_cmp_eq_u32_e64 s0, 3, v15
	s_wait_alu 0xf1ff
	s_delay_alu instid0(VALU_DEP_3) | instskip(SKIP_3) | instid1(VALU_DEP_2)
	v_cndmask_b32_e64 v14, 0x7c00, v14, s1
	s_wait_alu 0xfffd
	v_cndmask_b32_e64 v6, 0, 1, vcc_lo
	v_cmp_lt_i32_e32 vcc_lo, 5, v15
	v_lshl_or_b32 v6, v6, 9, 0x7c00
	s_or_b32 vcc_lo, s0, vcc_lo
	s_wait_alu 0xfffe
	v_add_co_ci_u32_e32 v10, vcc_lo, 0, v10, vcc_lo
	v_cmp_ne_u32_e32 vcc_lo, 0, v9
	s_wait_alu 0xfffd
	v_cndmask_b32_e64 v9, 0, 1, vcc_lo
	v_cmp_eq_u32_e32 vcc_lo, 0x40f, v21
	s_delay_alu instid0(VALU_DEP_2) | instskip(SKIP_4) | instid1(VALU_DEP_3)
	v_lshl_or_b32 v9, v9, 9, 0x7c00
	s_wait_alu 0xfffd
	v_cndmask_b32_e32 v6, v14, v6, vcc_lo
	v_cmp_gt_i32_e32 vcc_lo, 31, v20
	v_and_or_b32 v14, 0x8000, v5, v4
	v_and_or_b32 v6, 0x8000, v7, v6
	s_wait_alu 0xfffd
	v_cndmask_b32_e32 v10, 0x7c00, v10, vcc_lo
	v_cmp_eq_u32_e32 vcc_lo, 0x40f, v20
	s_wait_alu 0xfffd
	s_delay_alu instid0(VALU_DEP_2)
	v_cndmask_b32_e32 v7, v10, v9, vcc_lo
	v_lshrrev_b32_e32 v9, 16, v11
	v_add_co_u32 v4, vcc_lo, v12, s22
	s_wait_alu 0xfffd
	v_add_co_ci_u32_e32 v5, vcc_lo, s23, v13, vcc_lo
	v_lshl_or_b32 v10, v14, 16, v8
	v_and_or_b32 v8, 0x8000, v9, v7
	v_and_b32_e32 v9, 0xffff, v6
	v_add_co_u32 v6, vcc_lo, v4, s22
	s_wait_alu 0xfffd
	v_add_co_ci_u32_e32 v7, vcc_lo, s23, v5, vcc_lo
	s_delay_alu instid0(VALU_DEP_3) | instskip(NEXT) | instid1(VALU_DEP_3)
	v_lshl_or_b32 v11, v8, 16, v9
	v_add_co_u32 v8, vcc_lo, v6, s22
	s_wait_alu 0xfffd
	s_delay_alu instid0(VALU_DEP_3)
	v_add_co_ci_u32_e32 v9, vcc_lo, s23, v7, vcc_lo
	global_store_b32 v[2:3], v16, off
	global_store_b32 v[12:13], v18, off
	;; [unrolled: 1-line block ×5, first 2 shown]
	global_load_b32 v0, v37, s[20:21] offset:3360
	v_lshrrev_b32_e32 v2, 16, v1
	s_wait_loadcnt 0x0
	v_lshrrev_b32_e32 v3, 16, v0
	s_delay_alu instid0(VALU_DEP_1) | instskip(SKIP_1) | instid1(VALU_DEP_2)
	v_mul_f16_e32 v4, v2, v3
	v_mul_f16_e32 v3, v1, v3
	v_fmac_f16_e32 v4, v1, v0
	s_delay_alu instid0(VALU_DEP_2) | instskip(NEXT) | instid1(VALU_DEP_2)
	v_fma_f16 v0, v0, v2, -v3
	v_cvt_f32_f16_e32 v1, v4
	s_delay_alu instid0(VALU_DEP_2) | instskip(NEXT) | instid1(VALU_DEP_2)
	v_cvt_f32_f16_e32 v2, v0
	v_cvt_f64_f32_e32 v[0:1], v1
	s_delay_alu instid0(VALU_DEP_2) | instskip(NEXT) | instid1(VALU_DEP_2)
	v_cvt_f64_f32_e32 v[2:3], v2
	v_mul_f64_e32 v[0:1], s[24:25], v[0:1]
	s_delay_alu instid0(VALU_DEP_2) | instskip(NEXT) | instid1(VALU_DEP_2)
	v_mul_f64_e32 v[2:3], s[24:25], v[2:3]
	v_and_or_b32 v0, 0x1ff, v1, v0
	s_delay_alu instid0(VALU_DEP_2)
	v_and_or_b32 v2, 0x1ff, v3, v2
	v_lshrrev_b32_e32 v4, 8, v1
	v_bfe_u32 v5, v1, 20, 11
	v_lshrrev_b32_e32 v6, 8, v3
	v_cmp_ne_u32_e32 vcc_lo, 0, v0
	v_bfe_u32 v7, v3, 20, 11
	v_lshrrev_b32_e32 v1, 16, v1
	v_lshrrev_b32_e32 v3, 16, v3
	s_wait_alu 0xfffd
	v_cndmask_b32_e64 v0, 0, 1, vcc_lo
	v_cmp_ne_u32_e32 vcc_lo, 0, v2
	s_delay_alu instid0(VALU_DEP_2)
	v_and_or_b32 v0, 0xffe, v4, v0
	s_wait_alu 0xfffd
	v_cndmask_b32_e64 v2, 0, 1, vcc_lo
	v_sub_nc_u32_e32 v4, 0x3f1, v5
	v_add_nc_u32_e32 v5, 0xfffffc10, v5
	v_or_b32_e32 v10, 0x1000, v0
	s_delay_alu instid0(VALU_DEP_4) | instskip(SKIP_3) | instid1(VALU_DEP_4)
	v_and_or_b32 v2, 0xffe, v6, v2
	v_sub_nc_u32_e32 v6, 0x3f1, v7
	v_med3_i32 v4, v4, 0, 13
	v_add_nc_u32_e32 v7, 0xfffffc10, v7
	v_or_b32_e32 v11, 0x1000, v2
	s_delay_alu instid0(VALU_DEP_4) | instskip(NEXT) | instid1(VALU_DEP_4)
	v_med3_i32 v6, v6, 0, 13
	v_lshrrev_b32_e32 v12, v4, v10
	s_delay_alu instid0(VALU_DEP_2) | instskip(NEXT) | instid1(VALU_DEP_2)
	v_lshrrev_b32_e32 v13, v6, v11
	v_lshlrev_b32_e32 v4, v4, v12
	s_delay_alu instid0(VALU_DEP_2) | instskip(NEXT) | instid1(VALU_DEP_2)
	v_lshlrev_b32_e32 v6, v6, v13
	v_cmp_ne_u32_e32 vcc_lo, v4, v10
	v_lshl_or_b32 v10, v5, 12, v0
	s_wait_alu 0xfffd
	v_cndmask_b32_e64 v4, 0, 1, vcc_lo
	v_cmp_ne_u32_e32 vcc_lo, v6, v11
	v_lshl_or_b32 v11, v7, 12, v2
	s_delay_alu instid0(VALU_DEP_3) | instskip(SKIP_3) | instid1(VALU_DEP_2)
	v_or_b32_e32 v4, v12, v4
	s_wait_alu 0xfffd
	v_cndmask_b32_e64 v6, 0, 1, vcc_lo
	v_cmp_gt_i32_e32 vcc_lo, 1, v5
	v_or_b32_e32 v6, v13, v6
	s_wait_alu 0xfffd
	v_cndmask_b32_e32 v4, v10, v4, vcc_lo
	v_cmp_gt_i32_e32 vcc_lo, 1, v7
	s_delay_alu instid0(VALU_DEP_2) | instskip(SKIP_3) | instid1(VALU_DEP_3)
	v_and_b32_e32 v10, 7, v4
	s_wait_alu 0xfffd
	v_cndmask_b32_e32 v6, v11, v6, vcc_lo
	v_lshrrev_b32_e32 v4, 2, v4
	v_cmp_lt_i32_e32 vcc_lo, 5, v10
	v_cmp_eq_u32_e64 s0, 3, v10
	s_delay_alu instid0(VALU_DEP_4) | instskip(SKIP_1) | instid1(VALU_DEP_3)
	v_and_b32_e32 v11, 7, v6
	v_lshrrev_b32_e32 v6, 2, v6
	s_or_b32 vcc_lo, s0, vcc_lo
	s_delay_alu instid0(VALU_DEP_2)
	v_cmp_lt_i32_e64 s1, 5, v11
	s_wait_alu 0xfffe
	v_add_co_ci_u32_e32 v4, vcc_lo, 0, v4, vcc_lo
	v_cmp_eq_u32_e64 s2, 3, v11
	v_cmp_ne_u32_e32 vcc_lo, 0, v0
	s_wait_alu 0xfffd
	v_cndmask_b32_e64 v0, 0, 1, vcc_lo
	s_delay_alu instid0(VALU_DEP_3)
	s_or_b32 vcc_lo, s2, s1
	s_wait_alu 0xfffe
	v_add_co_ci_u32_e32 v6, vcc_lo, 0, v6, vcc_lo
	v_cmp_ne_u32_e32 vcc_lo, 0, v2
	v_lshl_or_b32 v0, v0, 9, 0x7c00
	s_wait_alu 0xfffd
	v_cndmask_b32_e64 v2, 0, 1, vcc_lo
	v_cmp_gt_i32_e32 vcc_lo, 31, v5
	s_delay_alu instid0(VALU_DEP_2)
	v_lshl_or_b32 v2, v2, 9, 0x7c00
	s_wait_alu 0xfffd
	v_cndmask_b32_e32 v4, 0x7c00, v4, vcc_lo
	v_cmp_gt_i32_e32 vcc_lo, 31, v7
	s_wait_alu 0xfffd
	v_cndmask_b32_e32 v6, 0x7c00, v6, vcc_lo
	v_cmp_eq_u32_e32 vcc_lo, 0x40f, v5
	s_wait_alu 0xfffd
	v_cndmask_b32_e32 v0, v4, v0, vcc_lo
	v_cmp_eq_u32_e32 vcc_lo, 0x40f, v7
	s_delay_alu instid0(VALU_DEP_2) | instskip(SKIP_2) | instid1(VALU_DEP_2)
	v_and_or_b32 v0, 0x8000, v1, v0
	s_wait_alu 0xfffd
	v_cndmask_b32_e32 v2, v6, v2, vcc_lo
	v_and_b32_e32 v0, 0xffff, v0
	s_delay_alu instid0(VALU_DEP_2) | instskip(NEXT) | instid1(VALU_DEP_1)
	v_and_or_b32 v1, 0x8000, v3, v2
	v_lshl_or_b32 v2, v1, 16, v0
	v_add_co_u32 v0, vcc_lo, v8, s22
	s_wait_alu 0xfffd
	v_add_co_ci_u32_e32 v1, vcc_lo, s23, v9, vcc_lo
	global_store_b32 v[0:1], v2, off
.LBB0_23:
	s_nop 0
	s_sendmsg sendmsg(MSG_DEALLOC_VGPRS)
	s_endpgm
	.section	.rodata,"a",@progbits
	.p2align	6, 0x0
	.amdhsa_kernel bluestein_single_fwd_len910_dim1_half_op_CI_CI
		.amdhsa_group_segment_fixed_size 7280
		.amdhsa_private_segment_fixed_size 0
		.amdhsa_kernarg_size 104
		.amdhsa_user_sgpr_count 2
		.amdhsa_user_sgpr_dispatch_ptr 0
		.amdhsa_user_sgpr_queue_ptr 0
		.amdhsa_user_sgpr_kernarg_segment_ptr 1
		.amdhsa_user_sgpr_dispatch_id 0
		.amdhsa_user_sgpr_private_segment_size 0
		.amdhsa_wavefront_size32 1
		.amdhsa_uses_dynamic_stack 0
		.amdhsa_enable_private_segment 0
		.amdhsa_system_sgpr_workgroup_id_x 1
		.amdhsa_system_sgpr_workgroup_id_y 0
		.amdhsa_system_sgpr_workgroup_id_z 0
		.amdhsa_system_sgpr_workgroup_info 0
		.amdhsa_system_vgpr_workitem_id 0
		.amdhsa_next_free_vgpr 228
		.amdhsa_next_free_sgpr 26
		.amdhsa_reserve_vcc 1
		.amdhsa_float_round_mode_32 0
		.amdhsa_float_round_mode_16_64 0
		.amdhsa_float_denorm_mode_32 3
		.amdhsa_float_denorm_mode_16_64 3
		.amdhsa_fp16_overflow 0
		.amdhsa_workgroup_processor_mode 1
		.amdhsa_memory_ordered 1
		.amdhsa_forward_progress 0
		.amdhsa_round_robin_scheduling 0
		.amdhsa_exception_fp_ieee_invalid_op 0
		.amdhsa_exception_fp_denorm_src 0
		.amdhsa_exception_fp_ieee_div_zero 0
		.amdhsa_exception_fp_ieee_overflow 0
		.amdhsa_exception_fp_ieee_underflow 0
		.amdhsa_exception_fp_ieee_inexact 0
		.amdhsa_exception_int_div_zero 0
	.end_amdhsa_kernel
	.text
.Lfunc_end0:
	.size	bluestein_single_fwd_len910_dim1_half_op_CI_CI, .Lfunc_end0-bluestein_single_fwd_len910_dim1_half_op_CI_CI
                                        ; -- End function
	.section	.AMDGPU.csdata,"",@progbits
; Kernel info:
; codeLenInByte = 26048
; NumSgprs: 28
; NumVgprs: 228
; ScratchSize: 0
; MemoryBound: 0
; FloatMode: 240
; IeeeMode: 1
; LDSByteSize: 7280 bytes/workgroup (compile time only)
; SGPRBlocks: 3
; VGPRBlocks: 28
; NumSGPRsForWavesPerEU: 28
; NumVGPRsForWavesPerEU: 228
; Occupancy: 6
; WaveLimiterHint : 1
; COMPUTE_PGM_RSRC2:SCRATCH_EN: 0
; COMPUTE_PGM_RSRC2:USER_SGPR: 2
; COMPUTE_PGM_RSRC2:TRAP_HANDLER: 0
; COMPUTE_PGM_RSRC2:TGID_X_EN: 1
; COMPUTE_PGM_RSRC2:TGID_Y_EN: 0
; COMPUTE_PGM_RSRC2:TGID_Z_EN: 0
; COMPUTE_PGM_RSRC2:TIDIG_COMP_CNT: 0
	.text
	.p2alignl 7, 3214868480
	.fill 96, 4, 3214868480
	.type	__hip_cuid_a1c35d76d19727ab,@object ; @__hip_cuid_a1c35d76d19727ab
	.section	.bss,"aw",@nobits
	.globl	__hip_cuid_a1c35d76d19727ab
__hip_cuid_a1c35d76d19727ab:
	.byte	0                               ; 0x0
	.size	__hip_cuid_a1c35d76d19727ab, 1

	.ident	"AMD clang version 19.0.0git (https://github.com/RadeonOpenCompute/llvm-project roc-6.4.0 25133 c7fe45cf4b819c5991fe208aaa96edf142730f1d)"
	.section	".note.GNU-stack","",@progbits
	.addrsig
	.addrsig_sym __hip_cuid_a1c35d76d19727ab
	.amdgpu_metadata
---
amdhsa.kernels:
  - .args:
      - .actual_access:  read_only
        .address_space:  global
        .offset:         0
        .size:           8
        .value_kind:     global_buffer
      - .actual_access:  read_only
        .address_space:  global
        .offset:         8
        .size:           8
        .value_kind:     global_buffer
      - .actual_access:  read_only
        .address_space:  global
        .offset:         16
        .size:           8
        .value_kind:     global_buffer
      - .actual_access:  read_only
        .address_space:  global
        .offset:         24
        .size:           8
        .value_kind:     global_buffer
      - .actual_access:  read_only
        .address_space:  global
        .offset:         32
        .size:           8
        .value_kind:     global_buffer
      - .offset:         40
        .size:           8
        .value_kind:     by_value
      - .address_space:  global
        .offset:         48
        .size:           8
        .value_kind:     global_buffer
      - .address_space:  global
        .offset:         56
        .size:           8
        .value_kind:     global_buffer
      - .address_space:  global
        .offset:         64
        .size:           8
        .value_kind:     global_buffer
      - .address_space:  global
        .offset:         72
        .size:           8
        .value_kind:     global_buffer
      - .offset:         80
        .size:           4
        .value_kind:     by_value
      - .address_space:  global
        .offset:         88
        .size:           8
        .value_kind:     global_buffer
      - .address_space:  global
        .offset:         96
        .size:           8
        .value_kind:     global_buffer
    .group_segment_fixed_size: 7280
    .kernarg_segment_align: 8
    .kernarg_segment_size: 104
    .language:       OpenCL C
    .language_version:
      - 2
      - 0
    .max_flat_workgroup_size: 182
    .name:           bluestein_single_fwd_len910_dim1_half_op_CI_CI
    .private_segment_fixed_size: 0
    .sgpr_count:     28
    .sgpr_spill_count: 0
    .symbol:         bluestein_single_fwd_len910_dim1_half_op_CI_CI.kd
    .uniform_work_group_size: 1
    .uses_dynamic_stack: false
    .vgpr_count:     228
    .vgpr_spill_count: 0
    .wavefront_size: 32
    .workgroup_processor_mode: 1
amdhsa.target:   amdgcn-amd-amdhsa--gfx1201
amdhsa.version:
  - 1
  - 2
...

	.end_amdgpu_metadata
